;; amdgpu-corpus repo=ROCm/rocFFT kind=compiled arch=gfx1030 opt=O3
	.text
	.amdgcn_target "amdgcn-amd-amdhsa--gfx1030"
	.amdhsa_code_object_version 6
	.protected	bluestein_single_back_len1122_dim1_dp_op_CI_CI ; -- Begin function bluestein_single_back_len1122_dim1_dp_op_CI_CI
	.globl	bluestein_single_back_len1122_dim1_dp_op_CI_CI
	.p2align	8
	.type	bluestein_single_back_len1122_dim1_dp_op_CI_CI,@function
bluestein_single_back_len1122_dim1_dp_op_CI_CI: ; @bluestein_single_back_len1122_dim1_dp_op_CI_CI
; %bb.0:
	v_mul_u32_u24_e32 v1, 0x283, v0
	s_mov_b64 s[62:63], s[2:3]
	s_mov_b64 s[60:61], s[0:1]
	s_load_dwordx4 s[0:3], s[4:5], 0x28
	s_add_u32 s60, s60, s7
	v_lshrrev_b32_e32 v1, 16, v1
	s_addc_u32 s61, s61, 0
	v_mov_b32_e32 v4, 0
	v_lshl_add_u32 v3, s6, 1, v1
	v_mov_b32_e32 v2, v3
	buffer_store_dword v2, off, s[60:63], 0 offset:16 ; 4-byte Folded Spill
	buffer_store_dword v3, off, s[60:63], 0 offset:20 ; 4-byte Folded Spill
	s_waitcnt lgkmcnt(0)
	v_cmp_gt_u64_e32 vcc_lo, s[0:1], v[3:4]
	s_and_saveexec_b32 s0, vcc_lo
	s_cbranch_execz .LBB0_23
; %bb.1:
	v_mul_lo_u16 v2, 0x66, v1
	s_clause 0x1
	s_load_dwordx2 s[12:13], s[4:5], 0x0
	s_load_dwordx2 s[14:15], s[4:5], 0x38
	v_and_b32_e32 v1, 1, v1
	v_sub_nc_u16 v0, v0, v2
	v_cmp_eq_u32_e32 vcc_lo, 1, v1
	v_and_b32_e32 v152, 0xffff, v0
	v_cndmask_b32_e64 v1, 0, 0x462, vcc_lo
	v_cmp_gt_u16_e32 vcc_lo, 0x42, v0
	v_lshlrev_b32_e32 v255, 4, v152
	v_lshlrev_b32_e32 v0, 4, v1
	buffer_store_dword v1, off, s[60:63], 0 ; 4-byte Folded Spill
	buffer_store_dword v0, off, s[60:63], 0 offset:24 ; 4-byte Folded Spill
	s_and_saveexec_b32 s1, vcc_lo
	s_cbranch_execz .LBB0_3
; %bb.2:
	s_load_dwordx2 s[6:7], s[4:5], 0x18
	s_waitcnt lgkmcnt(0)
	v_add_co_u32 v10, s0, s12, v255
	v_add_co_ci_u32_e64 v11, null, s13, 0, s0
	v_add_co_u32 v12, s0, 0x800, v10
	v_add_co_ci_u32_e64 v13, s0, 0, v11, s0
	v_add_co_u32 v20, s0, 0x1000, v10
	v_add_co_ci_u32_e64 v21, s0, 0, v11, s0
	;; [unrolled: 2-line block ×3, first 2 shown]
	v_add_co_u32 v36, s0, 0x2000, v10
	s_load_dwordx4 s[8:11], s[6:7], 0x0
	s_clause 0x1
	global_load_dwordx4 v[0:3], v255, s[12:13]
	global_load_dwordx4 v[4:7], v255, s[12:13] offset:1056
	s_clause 0x1
	buffer_load_dword v8, off, s[60:63], 0 offset:16
	buffer_load_dword v9, off, s[60:63], 0 offset:20
	v_add_co_ci_u32_e64 v37, s0, 0, v11, s0
	v_add_co_u32 v44, s0, 0x2800, v10
	v_add_co_ci_u32_e64 v45, s0, 0, v11, s0
	v_add_co_u32 v52, s0, 0x3000, v10
	;; [unrolled: 2-line block ×4, first 2 shown]
	v_add_co_ci_u32_e64 v129, s0, 0, v11, s0
	s_waitcnt lgkmcnt(0)
	v_mad_u64_u32 v[40:41], null, s8, v152, 0
	s_mul_i32 s6, s9, 0x420
	s_mul_hi_u32 s7, s8, 0x420
	s_add_i32 s7, s7, s6
	s_waitcnt vmcnt(0)
	v_mov_b32_e32 v9, v41
	v_mad_u64_u32 v[34:35], null, s9, v152, v[9:10]
	v_mov_b32_e32 v41, v34
	v_lshlrev_b64 v[40:41], 4, v[40:41]
	v_mov_b32_e32 v14, v8
	v_mad_u64_u32 v[32:33], null, s10, v14, 0
	v_mov_b32_e32 v8, v33
	v_mad_u64_u32 v[16:17], null, s11, v14, v[8:9]
	s_clause 0x1
	global_load_dwordx4 v[8:11], v[12:13], off offset:64
	global_load_dwordx4 v[12:15], v[12:13], off offset:1120
	v_mov_b32_e32 v33, v16
	s_clause 0x3
	global_load_dwordx4 v[16:19], v[20:21], off offset:128
	global_load_dwordx4 v[20:23], v[20:21], off offset:1184
	;; [unrolled: 1-line block ×4, first 2 shown]
	v_lshlrev_b64 v[42:43], 4, v[32:33]
	s_clause 0x1
	global_load_dwordx4 v[32:35], v[36:37], off offset:256
	global_load_dwordx4 v[36:39], v[36:37], off offset:1312
	v_add_co_u32 v42, s0, s2, v42
	v_add_co_ci_u32_e64 v43, s0, s3, v43, s0
	s_mul_i32 s2, s8, 0x420
	v_add_co_u32 v56, s0, v42, v40
	v_add_co_ci_u32_e64 v57, s0, v43, v41, s0
	s_clause 0x1
	global_load_dwordx4 v[40:43], v[44:45], off offset:320
	global_load_dwordx4 v[44:47], v[44:45], off offset:1376
	v_add_co_u32 v60, s0, v56, s2
	v_add_co_ci_u32_e64 v61, s0, s7, v57, s0
	s_clause 0x1
	global_load_dwordx4 v[48:51], v[52:53], off offset:384
	global_load_dwordx4 v[52:55], v[52:53], off offset:1440
	v_add_co_u32 v64, s0, v60, s2
	v_add_co_ci_u32_e64 v65, s0, s7, v61, s0
	s_clause 0x1
	global_load_dwordx4 v[56:59], v[56:57], off
	global_load_dwordx4 v[60:63], v[60:61], off
	v_add_co_u32 v68, s0, v64, s2
	v_add_co_ci_u32_e64 v69, s0, s7, v65, s0
	global_load_dwordx4 v[64:67], v[64:65], off
	v_add_co_u32 v72, s0, v68, s2
	v_add_co_ci_u32_e64 v73, s0, s7, v69, s0
	v_add_co_u32 v76, s0, v72, s2
	v_add_co_ci_u32_e64 v77, s0, s7, v73, s0
	s_clause 0x1
	global_load_dwordx4 v[68:71], v[68:69], off
	global_load_dwordx4 v[72:75], v[72:73], off
	v_add_co_u32 v80, s0, v76, s2
	v_add_co_ci_u32_e64 v81, s0, s7, v77, s0
	global_load_dwordx4 v[76:79], v[76:77], off
	v_add_co_u32 v84, s0, v80, s2
	v_add_co_ci_u32_e64 v85, s0, s7, v81, s0
	;; [unrolled: 3-line block ×11, first 2 shown]
	s_clause 0x1
	global_load_dwordx4 v[116:119], v[120:121], off offset:448
	global_load_dwordx4 v[120:123], v[120:121], off offset:1504
	global_load_dwordx4 v[124:127], v[124:125], off
	global_load_dwordx4 v[128:131], v[128:129], off offset:512
	global_load_dwordx4 v[132:135], v[132:133], off
	s_waitcnt vmcnt(19)
	v_mul_f64 v[136:137], v[58:59], v[2:3]
	v_mul_f64 v[2:3], v[56:57], v[2:3]
	s_waitcnt vmcnt(18)
	v_mul_f64 v[138:139], v[62:63], v[6:7]
	v_mul_f64 v[6:7], v[60:61], v[6:7]
	;; [unrolled: 3-line block ×6, first 2 shown]
	v_fma_f64 v[56:57], v[56:57], v[0:1], v[136:137]
	v_fma_f64 v[58:59], v[58:59], v[0:1], -v[2:3]
	v_fma_f64 v[0:1], v[60:61], v[4:5], v[138:139]
	v_fma_f64 v[2:3], v[62:63], v[4:5], -v[6:7]
	s_waitcnt vmcnt(13)
	v_mul_f64 v[60:61], v[82:83], v[26:27]
	v_mul_f64 v[26:27], v[80:81], v[26:27]
	v_fma_f64 v[4:5], v[64:65], v[8:9], v[140:141]
	v_fma_f64 v[6:7], v[66:67], v[8:9], -v[10:11]
	s_waitcnt vmcnt(12)
	v_mul_f64 v[62:63], v[86:87], v[30:31]
	v_mul_f64 v[30:31], v[84:85], v[30:31]
	s_waitcnt vmcnt(11)
	v_mul_f64 v[64:65], v[90:91], v[34:35]
	v_fma_f64 v[8:9], v[68:69], v[12:13], v[142:143]
	v_mul_f64 v[34:35], v[88:89], v[34:35]
	v_fma_f64 v[10:11], v[70:71], v[12:13], -v[14:15]
	v_fma_f64 v[12:13], v[72:73], v[16:17], v[144:145]
	s_waitcnt vmcnt(10)
	v_mul_f64 v[66:67], v[94:95], v[38:39]
	v_mul_f64 v[38:39], v[92:93], v[38:39]
	v_fma_f64 v[14:15], v[74:75], v[16:17], -v[18:19]
	v_fma_f64 v[16:17], v[76:77], v[20:21], v[146:147]
	v_fma_f64 v[18:19], v[78:79], v[20:21], -v[22:23]
	s_waitcnt vmcnt(9)
	v_mul_f64 v[68:69], v[98:99], v[42:43]
	v_mul_f64 v[42:43], v[96:97], v[42:43]
	v_fma_f64 v[20:21], v[80:81], v[24:25], v[60:61]
	v_fma_f64 v[22:23], v[82:83], v[24:25], -v[26:27]
	s_waitcnt vmcnt(8)
	v_mul_f64 v[70:71], v[102:103], v[46:47]
	v_mul_f64 v[46:47], v[100:101], v[46:47]
	;; [unrolled: 5-line block ×4, first 2 shown]
	v_fma_f64 v[32:33], v[92:93], v[36:37], v[66:67]
	v_fma_f64 v[34:35], v[94:95], v[36:37], -v[38:39]
	s_waitcnt vmcnt(4)
	v_mul_f64 v[76:77], v[114:115], v[118:119]
	v_fma_f64 v[36:37], v[96:97], v[40:41], v[68:69]
	buffer_load_dword v68, off, s[60:63], 0 ; 4-byte Folded Reload
	v_mul_f64 v[78:79], v[112:113], v[118:119]
	s_waitcnt vmcnt(3)
	v_mul_f64 v[118:119], v[126:127], v[122:123]
	v_mul_f64 v[122:123], v[124:125], v[122:123]
	s_waitcnt vmcnt(1)
	v_mul_f64 v[136:137], v[134:135], v[130:131]
	v_mul_f64 v[130:131], v[132:133], v[130:131]
	v_fma_f64 v[38:39], v[98:99], v[40:41], -v[42:43]
	v_fma_f64 v[40:41], v[100:101], v[44:45], v[70:71]
	v_fma_f64 v[42:43], v[102:103], v[44:45], -v[46:47]
	v_fma_f64 v[44:45], v[104:105], v[48:49], v[72:73]
	;; [unrolled: 2-line block ×6, first 2 shown]
	v_fma_f64 v[66:67], v[134:135], v[128:129], -v[130:131]
	s_waitcnt vmcnt(0)
	v_lshlrev_b32_e32 v69, 4, v68
	v_lshl_add_u32 v68, v152, 4, v69
	v_add_nc_u32_e32 v69, v69, v255
	ds_write_b128 v68, v[56:59]
	ds_write_b128 v69, v[0:3] offset:1056
	ds_write_b128 v69, v[4:7] offset:2112
	;; [unrolled: 1-line block ×16, first 2 shown]
.LBB0_3:
	s_or_b32 exec_lo, exec_lo, s1
	s_clause 0x1
	s_load_dwordx2 s[0:1], s[4:5], 0x20
	s_load_dwordx2 s[2:3], s[4:5], 0x8
	s_waitcnt lgkmcnt(0)
	s_waitcnt_vscnt null, 0x0
	s_barrier
	buffer_gl0_inv
                                        ; implicit-def: $vgpr24_vgpr25
                                        ; implicit-def: $vgpr40_vgpr41
                                        ; implicit-def: $vgpr48_vgpr49
                                        ; implicit-def: $vgpr52_vgpr53
                                        ; implicit-def: $vgpr56_vgpr57
                                        ; implicit-def: $vgpr60_vgpr61
                                        ; implicit-def: $vgpr64_vgpr65
                                        ; implicit-def: $vgpr68_vgpr69
                                        ; implicit-def: $vgpr72_vgpr73
                                        ; implicit-def: $vgpr76_vgpr77
                                        ; implicit-def: $vgpr80_vgpr81
                                        ; implicit-def: $vgpr84_vgpr85
                                        ; implicit-def: $vgpr44_vgpr45
                                        ; implicit-def: $vgpr36_vgpr37
                                        ; implicit-def: $vgpr32_vgpr33
                                        ; implicit-def: $vgpr28_vgpr29
                                        ; implicit-def: $vgpr20_vgpr21
	s_and_saveexec_b32 s4, vcc_lo
	s_cbranch_execz .LBB0_5
; %bb.4:
	buffer_load_dword v0, off, s[60:63], 0  ; 4-byte Folded Reload
	s_waitcnt vmcnt(0)
	v_lshl_add_u32 v0, v0, 4, v255
	ds_read_b128 v[24:27], v0
	ds_read_b128 v[40:43], v0 offset:1056
	ds_read_b128 v[48:51], v0 offset:2112
	;; [unrolled: 1-line block ×16, first 2 shown]
.LBB0_5:
	s_or_b32 exec_lo, exec_lo, s4
	s_waitcnt lgkmcnt(0)
	v_add_f64 v[128:129], v[42:43], -v[22:23]
	v_add_f64 v[136:137], v[40:41], -v[20:21]
	s_mov_b32 s18, 0x5d8e7cdc
	s_mov_b32 s19, 0xbfd71e95
	v_add_f64 v[88:89], v[50:51], -v[30:31]
	v_add_f64 v[120:121], v[48:49], -v[28:29]
	s_mov_b32 s26, 0x2a9d6da3
	s_mov_b32 s27, 0xbfe58eea
	;; [unrolled: 4-line block ×4, first 2 shown]
	v_add_f64 v[124:125], v[40:41], v[20:21]
	v_add_f64 v[140:141], v[42:43], v[22:23]
	s_mov_b32 s8, 0x370991
	s_mov_b32 s9, 0x3fedd6d0
	v_add_f64 v[90:91], v[48:49], v[28:29]
	v_add_f64 v[118:119], v[50:51], v[30:31]
	v_mul_f64 v[0:1], v[128:129], s[18:19]
	v_mul_f64 v[2:3], v[136:137], s[18:19]
	s_mov_b32 s20, 0x75d4884
	s_mov_b32 s21, 0x3fe7a5f6
	v_mul_f64 v[4:5], v[88:89], s[26:27]
	v_mul_f64 v[6:7], v[120:121], s[26:27]
	v_add_f64 v[114:115], v[54:55], v[34:35]
	s_mov_b32 s22, 0x2b2883cd
	v_mul_f64 v[8:9], v[110:111], s[30:31]
	v_mul_f64 v[10:11], v[142:143], s[30:31]
	s_mov_b32 s23, 0x3fdc86fa
	v_add_f64 v[130:131], v[58:59], v[38:39]
	v_mul_f64 v[12:13], v[132:133], s[4:5]
	v_mul_f64 v[14:15], v[144:145], s[4:5]
	s_mov_b32 s6, 0x3259b75e
	s_mov_b32 s7, 0x3fb79ee6
	v_add_f64 v[177:178], v[62:63], -v[46:47]
	s_mov_b32 s10, 0x923c349f
	s_mov_b32 s11, 0xbfeec746
	v_add_f64 v[106:107], v[52:53], v[32:33]
	v_add_f64 v[112:113], v[56:57], v[36:37]
	;; [unrolled: 1-line block ×3, first 2 shown]
	buffer_store_dword v0, off, s[60:63], 0 offset:140 ; 4-byte Folded Spill
	buffer_store_dword v1, off, s[60:63], 0 offset:144 ; 4-byte Folded Spill
	buffer_store_dword v2, off, s[60:63], 0 offset:148 ; 4-byte Folded Spill
	buffer_store_dword v3, off, s[60:63], 0 offset:152 ; 4-byte Folded Spill
	buffer_store_dword v4, off, s[60:63], 0 offset:44 ; 4-byte Folded Spill
	buffer_store_dword v5, off, s[60:63], 0 offset:48 ; 4-byte Folded Spill
	buffer_store_dword v6, off, s[60:63], 0 offset:92 ; 4-byte Folded Spill
	buffer_store_dword v7, off, s[60:63], 0 offset:96 ; 4-byte Folded Spill
	buffer_store_dword v8, off, s[60:63], 0 offset:60 ; 4-byte Folded Spill
	buffer_store_dword v9, off, s[60:63], 0 offset:64 ; 4-byte Folded Spill
	buffer_store_dword v10, off, s[60:63], 0 offset:76 ; 4-byte Folded Spill
	buffer_store_dword v11, off, s[60:63], 0 offset:80 ; 4-byte Folded Spill
	buffer_store_dword v12, off, s[60:63], 0 offset:108 ; 4-byte Folded Spill
	buffer_store_dword v13, off, s[60:63], 0 offset:112 ; 4-byte Folded Spill
	buffer_store_dword v14, off, s[60:63], 0 offset:124 ; 4-byte Folded Spill
	buffer_store_dword v15, off, s[60:63], 0 offset:128 ; 4-byte Folded Spill
	s_mov_b32 s16, 0xc61f0d01
	s_mov_b32 s17, 0xbfd183b1
	v_add_f64 v[233:234], v[60:61], -v[44:45]
	v_add_f64 v[161:162], v[62:63], v[46:47]
	v_add_f64 v[179:180], v[66:67], -v[86:87]
	s_mov_b32 s40, 0x6c9a05f6
	s_mov_b32 s41, 0xbfe9895b
	v_add_f64 v[157:158], v[64:65], v[84:85]
	s_mov_b32 s34, 0x6ed5f1bb
	s_mov_b32 s35, 0xbfe348c8
	v_add_f64 v[247:248], v[64:65], -v[84:85]
	v_add_f64 v[165:166], v[66:67], v[86:87]
	v_add_f64 v[183:184], v[70:71], -v[82:83]
	s_mov_b32 s50, 0x4363dd80
	s_mov_b32 s51, 0x3fe0d888
	;; [unrolled: 1-line block ×4, first 2 shown]
	v_add_f64 v[153:154], v[68:69], v[80:81]
	s_mov_b32 s36, 0x910ea3b9
	s_mov_b32 s37, 0xbfeb34fa
	v_add_f64 v[253:254], v[68:69], -v[80:81]
	v_add_f64 v[169:170], v[70:71], v[82:83]
	v_add_f64 v[98:99], v[74:75], -v[78:79]
	s_mov_b32 s42, 0xacd6c6b4
	s_mov_b32 s43, 0xbfc7851a
	v_add_f64 v[94:95], v[72:73], v[76:77]
	s_mov_b32 s38, 0x7faef3
	s_mov_b32 s39, 0xbfef7484
	v_add_f64 v[96:97], v[72:73], -v[76:77]
	v_add_f64 v[104:105], v[74:75], v[78:79]
	v_mul_f64 v[195:196], v[128:129], s[26:27]
	v_mul_f64 v[199:200], v[136:137], s[26:27]
	s_mov_b32 s25, 0x3feec746
	s_mov_b32 s24, s10
	;; [unrolled: 1-line block ×6, first 2 shown]
	v_mul_f64 v[217:218], v[128:129], s[30:31]
	v_mul_f64 v[92:93], v[88:89], s[40:41]
	;; [unrolled: 1-line block ×4, first 2 shown]
	s_mov_b32 s57, 0x3fc7851a
	s_mov_b32 s56, s42
	;; [unrolled: 1-line block ×3, first 2 shown]
	v_mul_f64 v[108:109], v[110:111], s[56:57]
	v_mul_f64 v[122:123], v[142:143], s[56:57]
	s_mov_b32 s48, s26
	v_mul_f64 v[126:127], v[144:145], s[24:25]
	v_mul_f64 v[134:135], v[233:234], s[48:49]
	;; [unrolled: 1-line block ×12, first 2 shown]
	s_mov_b32 s55, 0x3fe9895b
	s_mov_b32 s54, s40
	v_mul_f64 v[239:240], v[128:129], s[10:11]
	v_mul_f64 v[173:174], v[88:89], s[50:51]
	;; [unrolled: 1-line block ×10, first 2 shown]
	s_mov_b32 s29, 0x3fefdd0d
	s_mov_b32 s28, s4
	v_mul_f64 v[243:244], v[128:129], s[40:41]
	v_fma_f64 v[16:17], v[118:119], s[38:39], -v[155:156]
	v_mul_f64 v[251:252], v[179:180], s[28:29]
	v_mul_f64 v[197:198], v[247:248], s[28:29]
	;; [unrolled: 1-line block ×9, first 2 shown]
	v_fma_f64 v[18:19], v[90:91], s[36:37], v[173:174]
	v_mul_f64 v[229:230], v[253:254], s[42:43]
	v_fma_f64 v[100:101], v[118:119], s[36:37], -v[185:186]
	v_fma_f64 v[102:103], v[90:91], s[16:17], v[201:202]
	v_fma_f64 v[203:204], v[118:119], s[16:17], -v[207:208]
	v_fma_f64 v[0:1], v[124:125], s[8:9], v[0:1]
	;; [unrolled: 2-line block ×4, first 2 shown]
	v_add_f64 v[0:1], v[24:25], v[0:1]
	v_add_f64 v[2:3], v[26:27], v[2:3]
	;; [unrolled: 1-line block ×4, first 2 shown]
	v_fma_f64 v[4:5], v[114:115], s[22:23], -v[10:11]
	v_fma_f64 v[6:7], v[112:113], s[6:7], v[12:13]
	v_add_f64 v[0:1], v[8:9], v[0:1]
	v_mul_f64 v[8:9], v[120:121], s[4:5]
	v_add_f64 v[2:3], v[4:5], v[2:3]
	v_fma_f64 v[4:5], v[130:131], s[6:7], -v[14:15]
	v_fma_f64 v[14:15], v[90:91], s[38:39], v[138:139]
	v_add_f64 v[0:1], v[6:7], v[0:1]
	v_mul_f64 v[6:7], v[88:89], s[4:5]
	v_add_f64 v[2:3], v[4:5], v[2:3]
	v_mul_f64 v[4:5], v[177:178], s[10:11]
	buffer_store_dword v4, off, s[60:63], 0 offset:156 ; 4-byte Folded Spill
	buffer_store_dword v5, off, s[60:63], 0 offset:160 ; 4-byte Folded Spill
	v_fma_f64 v[4:5], v[148:149], s[16:17], v[4:5]
	v_add_f64 v[0:1], v[4:5], v[0:1]
	v_mul_f64 v[4:5], v[233:234], s[10:11]
	buffer_store_dword v4, off, s[60:63], 0 offset:180 ; 4-byte Folded Spill
	buffer_store_dword v5, off, s[60:63], 0 offset:184 ; 4-byte Folded Spill
	v_fma_f64 v[4:5], v[161:162], s[16:17], -v[4:5]
	v_add_f64 v[2:3], v[4:5], v[2:3]
	v_mul_f64 v[4:5], v[179:180], s[40:41]
	buffer_store_dword v4, off, s[60:63], 0 offset:172 ; 4-byte Folded Spill
	buffer_store_dword v5, off, s[60:63], 0 offset:176 ; 4-byte Folded Spill
	v_fma_f64 v[4:5], v[157:158], s[34:35], v[4:5]
	v_add_f64 v[0:1], v[4:5], v[0:1]
	v_mul_f64 v[4:5], v[247:248], s[40:41]
	buffer_store_dword v4, off, s[60:63], 0 offset:188 ; 4-byte Folded Spill
	buffer_store_dword v5, off, s[60:63], 0 offset:192 ; 4-byte Folded Spill
	v_fma_f64 v[4:5], v[165:166], s[34:35], -v[4:5]
	v_add_f64 v[2:3], v[4:5], v[2:3]
	v_mul_f64 v[4:5], v[183:184], s[44:45]
	buffer_store_dword v4, off, s[60:63], 0 offset:164 ; 4-byte Folded Spill
	buffer_store_dword v5, off, s[60:63], 0 offset:168 ; 4-byte Folded Spill
	v_fma_f64 v[4:5], v[153:154], s[36:37], v[4:5]
	v_add_f64 v[0:1], v[4:5], v[0:1]
	v_mul_f64 v[4:5], v[253:254], s[44:45]
	buffer_store_dword v4, off, s[60:63], 0 offset:196 ; 4-byte Folded Spill
	buffer_store_dword v5, off, s[60:63], 0 offset:200 ; 4-byte Folded Spill
	v_fma_f64 v[4:5], v[169:170], s[36:37], -v[4:5]
	v_add_f64 v[2:3], v[4:5], v[2:3]
	v_mul_f64 v[4:5], v[98:99], s[42:43]
	buffer_store_dword v4, off, s[60:63], 0 offset:204 ; 4-byte Folded Spill
	buffer_store_dword v5, off, s[60:63], 0 offset:208 ; 4-byte Folded Spill
	v_fma_f64 v[4:5], v[94:95], s[38:39], v[4:5]
	v_add_f64 v[0:1], v[4:5], v[0:1]
	v_mul_f64 v[4:5], v[96:97], s[42:43]
	buffer_store_dword v4, off, s[60:63], 0 offset:212 ; 4-byte Folded Spill
	buffer_store_dword v5, off, s[60:63], 0 offset:216 ; 4-byte Folded Spill
	;; [unrolled: 1-line block ×6, first 2 shown]
	v_fma_f64 v[4:5], v[104:105], s[38:39], -v[4:5]
	v_fma_f64 v[6:7], v[90:91], s[6:7], v[6:7]
	v_fma_f64 v[8:9], v[118:119], s[6:7], -v[8:9]
	v_add_f64 v[2:3], v[4:5], v[2:3]
	v_fma_f64 v[4:5], v[124:125], s[20:21], v[195:196]
	v_add_f64 v[4:5], v[24:25], v[4:5]
	v_add_f64 v[4:5], v[6:7], v[4:5]
	v_fma_f64 v[6:7], v[140:141], s[20:21], -v[199:200]
	v_add_f64 v[6:7], v[26:27], v[6:7]
	v_add_f64 v[6:7], v[8:9], v[6:7]
	v_mul_f64 v[8:9], v[110:111], s[40:41]
	buffer_store_dword v8, off, s[60:63], 0 offset:300 ; 4-byte Folded Spill
	buffer_store_dword v9, off, s[60:63], 0 offset:304 ; 4-byte Folded Spill
	v_fma_f64 v[8:9], v[106:107], s[34:35], v[8:9]
	v_add_f64 v[4:5], v[8:9], v[4:5]
	v_mul_f64 v[8:9], v[142:143], s[40:41]
	buffer_store_dword v8, off, s[60:63], 0 offset:316 ; 4-byte Folded Spill
	buffer_store_dword v9, off, s[60:63], 0 offset:320 ; 4-byte Folded Spill
	v_fma_f64 v[8:9], v[114:115], s[34:35], -v[8:9]
	v_add_f64 v[6:7], v[8:9], v[6:7]
	v_mul_f64 v[8:9], v[132:133], s[42:43]
	buffer_store_dword v8, off, s[60:63], 0 offset:284 ; 4-byte Folded Spill
	buffer_store_dword v9, off, s[60:63], 0 offset:288 ; 4-byte Folded Spill
	v_fma_f64 v[8:9], v[112:113], s[38:39], v[8:9]
	v_add_f64 v[4:5], v[8:9], v[4:5]
	v_mul_f64 v[8:9], v[144:145], s[42:43]
	buffer_store_dword v8, off, s[60:63], 0 offset:292 ; 4-byte Folded Spill
	buffer_store_dword v9, off, s[60:63], 0 offset:296 ; 4-byte Folded Spill
	v_fma_f64 v[8:9], v[130:131], s[38:39], -v[8:9]
	;; [unrolled: 10-line block ×5, first 2 shown]
	v_add_f64 v[6:7], v[8:9], v[6:7]
	v_mul_f64 v[8:9], v[98:99], s[52:53]
	buffer_store_dword v8, off, s[60:63], 0 offset:220 ; 4-byte Folded Spill
	buffer_store_dword v9, off, s[60:63], 0 offset:224 ; 4-byte Folded Spill
	v_fma_f64 v[8:9], v[94:95], s[8:9], v[8:9]
	v_add_f64 v[10:11], v[8:9], v[4:5]
	v_mov_b32_e32 v5, v3
	v_mov_b32_e32 v4, v2
	v_mov_b32_e32 v3, v1
	v_mov_b32_e32 v2, v0
	v_mul_f64 v[0:1], v[96:97], s[52:53]
	v_fma_f64 v[8:9], v[104:105], s[8:9], -v[0:1]
	v_add_f64 v[12:13], v[8:9], v[6:7]
	v_mul_f64 v[6:7], v[132:133], s[24:25]
	buffer_store_dword v10, off, s[60:63], 0 offset:28 ; 4-byte Folded Spill
	buffer_store_dword v11, off, s[60:63], 0 offset:32 ; 4-byte Folded Spill
	buffer_store_dword v12, off, s[60:63], 0 offset:36 ; 4-byte Folded Spill
	buffer_store_dword v13, off, s[60:63], 0 offset:40 ; 4-byte Folded Spill
	buffer_store_dword v6, off, s[60:63], 0 offset:372 ; 4-byte Folded Spill
	buffer_store_dword v7, off, s[60:63], 0 offset:376 ; 4-byte Folded Spill
	v_fma_f64 v[8:9], v[124:125], s[22:23], v[217:218]
	v_fma_f64 v[10:11], v[90:91], s[34:35], v[92:93]
	v_fma_f64 v[12:13], v[118:119], s[34:35], -v[116:117]
	v_add_f64 v[8:9], v[24:25], v[8:9]
	v_add_f64 v[8:9], v[10:11], v[8:9]
	v_fma_f64 v[10:11], v[140:141], s[22:23], -v[223:224]
	v_add_f64 v[10:11], v[26:27], v[10:11]
	v_add_f64 v[10:11], v[12:13], v[10:11]
	v_fma_f64 v[12:13], v[106:107], s[38:39], v[108:109]
	v_add_f64 v[8:9], v[12:13], v[8:9]
	v_fma_f64 v[12:13], v[114:115], s[38:39], -v[122:123]
	v_add_f64 v[10:11], v[12:13], v[10:11]
	v_fma_f64 v[12:13], v[112:113], s[16:17], v[6:7]
	v_mul_f64 v[6:7], v[177:178], s[48:49]
	buffer_store_dword v6, off, s[60:63], 0 offset:364 ; 4-byte Folded Spill
	buffer_store_dword v7, off, s[60:63], 0 offset:368 ; 4-byte Folded Spill
	v_add_f64 v[8:9], v[12:13], v[8:9]
	v_fma_f64 v[12:13], v[130:131], s[16:17], -v[126:127]
	v_add_f64 v[10:11], v[12:13], v[10:11]
	v_fma_f64 v[12:13], v[148:149], s[20:21], v[6:7]
	v_mul_f64 v[6:7], v[179:180], s[18:19]
	buffer_store_dword v6, off, s[60:63], 0 offset:332 ; 4-byte Folded Spill
	buffer_store_dword v7, off, s[60:63], 0 offset:336 ; 4-byte Folded Spill
	;; [unrolled: 7-line block ×3, first 2 shown]
	v_add_f64 v[8:9], v[12:13], v[8:9]
	v_fma_f64 v[12:13], v[165:166], s[8:9], -v[6:7]
	v_mul_f64 v[6:7], v[183:184], s[4:5]
	buffer_store_dword v6, off, s[60:63], 0 offset:308 ; 4-byte Folded Spill
	buffer_store_dword v7, off, s[60:63], 0 offset:312 ; 4-byte Folded Spill
	v_add_f64 v[10:11], v[12:13], v[10:11]
	v_fma_f64 v[12:13], v[153:154], s[6:7], v[6:7]
	v_mul_f64 v[6:7], v[253:254], s[4:5]
	buffer_store_dword v6, off, s[60:63], 0 offset:324 ; 4-byte Folded Spill
	buffer_store_dword v7, off, s[60:63], 0 offset:328 ; 4-byte Folded Spill
	v_add_f64 v[8:9], v[12:13], v[8:9]
	v_fma_f64 v[12:13], v[169:170], s[6:7], -v[6:7]
	v_mul_f64 v[6:7], v[98:99], s[44:45]
	v_add_f64 v[10:11], v[12:13], v[10:11]
	v_fma_f64 v[12:13], v[94:95], s[36:37], v[6:7]
	v_add_f64 v[8:9], v[12:13], v[8:9]
	v_mul_f64 v[12:13], v[96:97], s[44:45]
	buffer_store_dword v12, off, s[60:63], 0 offset:268 ; 4-byte Folded Spill
	buffer_store_dword v13, off, s[60:63], 0 offset:272 ; 4-byte Folded Spill
	v_fma_f64 v[12:13], v[104:105], s[36:37], -v[12:13]
	v_add_f64 v[10:11], v[12:13], v[10:11]
	v_fma_f64 v[12:13], v[124:125], s[6:7], v[235:236]
	v_add_f64 v[12:13], v[24:25], v[12:13]
	v_add_f64 v[12:13], v[14:15], v[12:13]
	v_fma_f64 v[14:15], v[140:141], s[6:7], -v[237:238]
	v_add_f64 v[14:15], v[26:27], v[14:15]
	v_add_f64 v[14:15], v[16:17], v[14:15]
	v_fma_f64 v[16:17], v[106:107], s[16:17], v[146:147]
	v_add_f64 v[12:13], v[16:17], v[12:13]
	v_fma_f64 v[16:17], v[114:115], s[16:17], -v[159:160]
	v_add_f64 v[14:15], v[16:17], v[14:15]
	v_fma_f64 v[16:17], v[112:113], s[8:9], v[150:151]
	v_add_f64 v[12:13], v[16:17], v[12:13]
	v_fma_f64 v[16:17], v[130:131], s[8:9], -v[167:168]
	;; [unrolled: 4-line block ×3, first 2 shown]
	v_add_f64 v[14:15], v[16:17], v[14:15]
	v_mul_f64 v[16:17], v[179:180], s[44:45]
	buffer_store_dword v16, off, s[60:63], 0 offset:396 ; 4-byte Folded Spill
	buffer_store_dword v17, off, s[60:63], 0 offset:400 ; 4-byte Folded Spill
	v_fma_f64 v[16:17], v[157:158], s[36:37], v[16:17]
	v_add_f64 v[12:13], v[16:17], v[12:13]
	v_mul_f64 v[16:17], v[247:248], s[44:45]
	buffer_store_dword v16, off, s[60:63], 0 offset:404 ; 4-byte Folded Spill
	buffer_store_dword v17, off, s[60:63], 0 offset:408 ; 4-byte Folded Spill
	v_fma_f64 v[16:17], v[165:166], s[36:37], -v[16:17]
	v_add_f64 v[14:15], v[16:17], v[14:15]
	v_mul_f64 v[16:17], v[183:184], s[54:55]
	buffer_store_dword v16, off, s[60:63], 0 offset:380 ; 4-byte Folded Spill
	buffer_store_dword v17, off, s[60:63], 0 offset:384 ; 4-byte Folded Spill
	v_fma_f64 v[16:17], v[153:154], s[34:35], v[16:17]
	v_add_f64 v[12:13], v[16:17], v[12:13]
	v_mul_f64 v[16:17], v[253:254], s[54:55]
	buffer_store_dword v16, off, s[60:63], 0 offset:388 ; 4-byte Folded Spill
	buffer_store_dword v17, off, s[60:63], 0 offset:392 ; 4-byte Folded Spill
	v_fma_f64 v[16:17], v[169:170], s[34:35], -v[16:17]
	;; [unrolled: 10-line block ×3, first 2 shown]
	v_add_f64 v[14:15], v[16:17], v[14:15]
	v_fma_f64 v[16:17], v[124:125], s[16:17], v[239:240]
	v_add_f64 v[16:17], v[24:25], v[16:17]
	v_add_f64 v[16:17], v[18:19], v[16:17]
	v_fma_f64 v[18:19], v[140:141], s[16:17], -v[241:242]
	v_add_f64 v[18:19], v[26:27], v[18:19]
	v_add_f64 v[18:19], v[100:101], v[18:19]
	v_fma_f64 v[100:101], v[106:107], s[20:21], v[175:176]
	v_add_f64 v[16:17], v[100:101], v[16:17]
	v_fma_f64 v[100:101], v[114:115], s[20:21], -v[189:190]
	v_add_f64 v[18:19], v[100:101], v[18:19]
	v_fma_f64 v[100:101], v[112:113], s[22:23], v[181:182]
	v_add_f64 v[16:17], v[100:101], v[16:17]
	v_fma_f64 v[100:101], v[130:131], s[22:23], -v[191:192]
	;; [unrolled: 4-line block ×4, first 2 shown]
	v_add_f64 v[18:19], v[100:101], v[18:19]
	v_mul_f64 v[100:101], v[183:184], s[18:19]
	buffer_store_dword v100, off, s[60:63], 0 offset:436 ; 4-byte Folded Spill
	buffer_store_dword v101, off, s[60:63], 0 offset:440 ; 4-byte Folded Spill
	v_fma_f64 v[100:101], v[153:154], s[8:9], v[100:101]
	v_add_f64 v[16:17], v[100:101], v[16:17]
	v_mul_f64 v[100:101], v[253:254], s[18:19]
	buffer_store_dword v100, off, s[60:63], 0 offset:452 ; 4-byte Folded Spill
	buffer_store_dword v101, off, s[60:63], 0 offset:456 ; 4-byte Folded Spill
	v_fma_f64 v[100:101], v[169:170], s[8:9], -v[100:101]
	v_add_f64 v[18:19], v[100:101], v[18:19]
	v_mul_f64 v[100:101], v[98:99], s[40:41]
	buffer_store_dword v100, off, s[60:63], 0 offset:412 ; 4-byte Folded Spill
	buffer_store_dword v101, off, s[60:63], 0 offset:416 ; 4-byte Folded Spill
	v_fma_f64 v[100:101], v[94:95], s[34:35], v[100:101]
	v_add_f64 v[16:17], v[100:101], v[16:17]
	v_mul_f64 v[100:101], v[96:97], s[40:41]
	buffer_store_dword v100, off, s[60:63], 0 offset:420 ; 4-byte Folded Spill
	buffer_store_dword v101, off, s[60:63], 0 offset:424 ; 4-byte Folded Spill
	s_waitcnt_vscnt null, 0x0
	s_barrier
	buffer_gl0_inv
	v_fma_f64 v[100:101], v[104:105], s[34:35], -v[100:101]
	v_add_f64 v[18:19], v[100:101], v[18:19]
	v_fma_f64 v[100:101], v[124:125], s[34:35], v[243:244]
	v_add_f64 v[100:101], v[24:25], v[100:101]
	v_add_f64 v[100:101], v[102:103], v[100:101]
	v_fma_f64 v[102:103], v[140:141], s[34:35], -v[245:246]
	v_add_f64 v[102:103], v[26:27], v[102:103]
	v_add_f64 v[102:103], v[203:204], v[102:103]
	v_mul_f64 v[203:204], v[110:111], s[18:19]
	v_fma_f64 v[205:206], v[106:107], s[8:9], v[203:204]
	v_add_f64 v[100:101], v[205:206], v[100:101]
	v_fma_f64 v[205:206], v[114:115], s[8:9], -v[211:212]
	v_add_f64 v[102:103], v[205:206], v[102:103]
	v_mul_f64 v[205:206], v[132:133], s[44:45]
	v_fma_f64 v[209:210], v[112:113], s[36:37], v[205:206]
	v_add_f64 v[100:101], v[209:210], v[100:101]
	v_fma_f64 v[209:210], v[130:131], s[36:37], -v[215:216]
	;; [unrolled: 5-line block ×5, first 2 shown]
	v_add_f64 v[102:103], v[225:226], v[102:103]
	v_mul_f64 v[225:226], v[98:99], s[46:47]
	v_fma_f64 v[231:232], v[94:95], s[22:23], v[225:226]
	v_add_f64 v[100:101], v[231:232], v[100:101]
	v_mul_f64 v[231:232], v[96:97], s[46:47]
	v_fma_f64 v[249:250], v[104:105], s[22:23], -v[231:232]
	v_add_f64 v[102:103], v[249:250], v[102:103]
	s_and_saveexec_b32 s33, vcc_lo
	s_cbranch_execz .LBB0_7
; %bb.6:
	v_add_f64 v[42:43], v[26:27], v[42:43]
	v_add_f64 v[40:41], v[24:25], v[40:41]
	;; [unrolled: 1-line block ×4, first 2 shown]
	v_mul_f64 v[50:51], v[124:125], s[16:17]
	v_add_f64 v[42:43], v[42:43], v[54:55]
	v_add_f64 v[40:41], v[40:41], v[52:53]
	v_mul_f64 v[54:55], v[124:125], s[6:7]
	v_add_f64 v[50:51], v[50:51], -v[239:240]
	v_mul_f64 v[52:53], v[140:141], s[6:7]
	v_add_f64 v[42:43], v[42:43], v[58:59]
	v_add_f64 v[40:41], v[40:41], v[56:57]
	v_mul_f64 v[58:59], v[124:125], s[22:23]
	v_add_f64 v[54:55], v[54:55], -v[235:236]
	v_add_f64 v[50:51], v[24:25], v[50:51]
	v_mul_f64 v[56:57], v[140:141], s[22:23]
	v_add_f64 v[52:53], v[237:238], v[52:53]
	v_add_f64 v[42:43], v[42:43], v[62:63]
	;; [unrolled: 1-line block ×3, first 2 shown]
	v_mul_f64 v[62:63], v[124:125], s[20:21]
	v_add_f64 v[58:59], v[58:59], -v[217:218]
	v_add_f64 v[54:55], v[24:25], v[54:55]
	v_mul_f64 v[60:61], v[140:141], s[20:21]
	v_add_f64 v[56:57], v[223:224], v[56:57]
	v_add_f64 v[52:53], v[26:27], v[52:53]
	;; [unrolled: 1-line block ×4, first 2 shown]
	v_mul_f64 v[64:65], v[140:141], s[8:9]
	v_mul_f64 v[66:67], v[128:129], s[42:43]
	v_add_f64 v[62:63], v[62:63], -v[195:196]
	v_add_f64 v[58:59], v[24:25], v[58:59]
	v_add_f64 v[60:61], v[199:200], v[60:61]
	;; [unrolled: 1-line block ×5, first 2 shown]
	v_mul_f64 v[68:69], v[128:129], s[44:45]
	v_fma_f64 v[70:71], v[124:125], s[38:39], v[66:67]
	v_fma_f64 v[66:67], v[124:125], s[38:39], -v[66:67]
	v_add_f64 v[62:63], v[24:25], v[62:63]
	v_add_f64 v[60:61], v[26:27], v[60:61]
	;; [unrolled: 1-line block ×4, first 2 shown]
	v_mul_f64 v[74:75], v[124:125], s[8:9]
	v_fma_f64 v[72:73], v[124:125], s[36:37], v[68:69]
	v_fma_f64 v[68:69], v[124:125], s[36:37], -v[68:69]
	v_add_f64 v[70:71], v[24:25], v[70:71]
	v_add_f64 v[66:67], v[24:25], v[66:67]
	v_add_f64 v[42:43], v[42:43], v[78:79]
	v_add_f64 v[40:41], v[40:41], v[76:77]
	v_add_f64 v[72:73], v[24:25], v[72:73]
	v_add_f64 v[68:69], v[24:25], v[68:69]
	v_add_f64 v[42:43], v[42:43], v[82:83]
	v_add_f64 v[40:41], v[40:41], v[80:81]
	v_add_f64 v[42:43], v[42:43], v[86:87]
	v_add_f64 v[48:49], v[40:41], v[84:85]
	v_add_f64 v[40:41], v[42:43], v[46:47]
	v_add_f64 v[42:43], v[48:49], v[44:45]
	v_mul_f64 v[44:45], v[140:141], s[34:35]
	v_mul_f64 v[46:47], v[124:125], s[34:35]
	;; [unrolled: 1-line block ×3, first 2 shown]
	v_add_f64 v[38:39], v[40:41], v[38:39]
	v_add_f64 v[36:37], v[42:43], v[36:37]
	;; [unrolled: 1-line block ×3, first 2 shown]
	v_mov_b32_e32 v246, v7
	v_mov_b32_e32 v245, v6
	;; [unrolled: 1-line block ×4, first 2 shown]
	s_clause 0x1
	buffer_load_dword v0, off, s[60:63], 0 offset:148
	buffer_load_dword v1, off, s[60:63], 0 offset:152
	v_add_f64 v[46:47], v[46:47], -v[243:244]
	v_mul_f64 v[40:41], v[140:141], s[36:37]
	v_add_f64 v[48:49], v[241:242], v[48:49]
	v_add_f64 v[34:35], v[38:39], v[34:35]
	;; [unrolled: 1-line block ×3, first 2 shown]
	v_mul_f64 v[36:37], v[140:141], s[38:39]
	v_add_f64 v[44:45], v[26:27], v[44:45]
	v_add_f64 v[46:47], v[24:25], v[46:47]
	v_fma_f64 v[42:43], v[136:137], s[50:51], v[40:41]
	v_fma_f64 v[40:41], v[136:137], s[44:45], v[40:41]
	v_add_f64 v[48:49], v[26:27], v[48:49]
	v_fma_f64 v[38:39], v[136:137], s[56:57], v[36:37]
	v_fma_f64 v[36:37], v[136:137], s[42:43], v[36:37]
	v_add_f64 v[42:43], v[26:27], v[42:43]
	v_add_f64 v[40:41], v[26:27], v[40:41]
	;; [unrolled: 1-line block ×4, first 2 shown]
	s_waitcnt vmcnt(0)
	v_add_f64 v[64:65], v[0:1], v[64:65]
	s_clause 0x1
	buffer_load_dword v0, off, s[60:63], 0 offset:140
	buffer_load_dword v1, off, s[60:63], 0 offset:144
	v_add_f64 v[64:65], v[26:27], v[64:65]
	v_add_f64 v[26:27], v[32:33], v[28:29]
	v_mul_f64 v[32:33], v[169:170], s[38:39]
	v_mul_f64 v[28:29], v[169:170], s[16:17]
	v_add_f64 v[20:21], v[26:27], v[20:21]
	v_add_f64 v[229:230], v[229:230], v[32:33]
	v_mul_f64 v[32:33], v[165:166], s[20:21]
	v_fma_f64 v[76:77], v[253:254], s[24:25], v[28:29]
	v_fma_f64 v[78:79], v[253:254], s[10:11], v[28:29]
	v_add_f64 v[227:228], v[227:228], v[32:33]
	v_mul_f64 v[32:33], v[161:162], s[6:7]
	v_add_f64 v[221:222], v[221:222], v[32:33]
	v_mul_f64 v[32:33], v[130:131], s[36:37]
	;; [unrolled: 2-line block ×5, first 2 shown]
	v_add_f64 v[44:45], v[207:208], v[44:45]
	v_add_f64 v[32:33], v[32:33], -v[225:226]
	v_mul_f64 v[225:226], v[90:91], s[6:7]
	v_add_f64 v[44:45], v[211:212], v[44:45]
	v_add_f64 v[44:45], v[215:216], v[44:45]
	;; [unrolled: 1-line block ×3, first 2 shown]
	s_waitcnt vmcnt(0)
	v_add_f64 v[74:75], v[74:75], -v[0:1]
	s_clause 0x1
	buffer_load_dword v0, off, s[60:63], 0 offset:444
	buffer_load_dword v1, off, s[60:63], 0 offset:448
	v_add_f64 v[74:75], v[24:25], v[74:75]
	v_add_f64 v[24:25], v[34:35], v[30:31]
	v_mul_f64 v[34:35], v[153:154], s[38:39]
	v_mul_f64 v[30:31], v[169:170], s[20:21]
	v_add_f64 v[22:23], v[24:25], v[22:23]
	v_add_f64 v[34:35], v[34:35], -v[219:220]
	v_mul_f64 v[219:220], v[157:158], s[20:21]
	v_fma_f64 v[28:29], v[253:254], s[26:27], v[30:31]
	v_fma_f64 v[80:81], v[253:254], s[48:49], v[30:31]
	v_mul_f64 v[30:31], v[165:166], s[22:23]
	v_add_f64 v[213:214], v[219:220], -v[213:214]
	v_mul_f64 v[219:220], v[148:149], s[6:7]
	v_fma_f64 v[82:83], v[247:248], s[30:31], v[30:31]
	v_fma_f64 v[84:85], v[247:248], s[46:47], v[30:31]
	v_mul_f64 v[30:31], v[165:166], s[38:39]
	;; [unrolled: 5-line block ×6, first 2 shown]
	v_add_f64 v[46:47], v[201:202], v[46:47]
	v_add_f64 v[197:198], v[197:198], v[219:220]
	v_mul_f64 v[219:220], v[114:115], s[20:21]
	v_fma_f64 v[223:224], v[144:145], s[40:41], v[30:31]
	v_fma_f64 v[144:145], v[144:145], s[54:55], v[30:31]
	v_mul_f64 v[30:31], v[114:115], s[36:37]
	v_add_f64 v[46:47], v[203:204], v[46:47]
	v_add_f64 v[189:190], v[189:190], v[219:220]
	v_mul_f64 v[219:220], v[118:119], s[36:37]
	v_fma_f64 v[233:234], v[142:143], s[50:51], v[30:31]
	v_fma_f64 v[235:236], v[142:143], s[44:45], v[30:31]
	v_mul_f64 v[30:31], v[114:115], s[6:7]
	;; [unrolled: 6-line block ×3, first 2 shown]
	v_add_f64 v[46:47], v[209:210], v[46:47]
	v_add_f64 v[48:49], v[185:186], v[48:49]
	;; [unrolled: 1-line block ×3, first 2 shown]
	v_mul_f64 v[219:220], v[161:162], s[38:39]
	v_fma_f64 v[239:240], v[120:121], s[18:19], v[30:31]
	v_fma_f64 v[241:242], v[120:121], s[52:53], v[30:31]
	v_mul_f64 v[30:31], v[118:119], s[22:23]
	v_add_f64 v[48:49], v[189:190], v[48:49]
	v_add_f64 v[193:194], v[193:194], v[219:220]
	v_mul_f64 v[219:220], v[90:91], s[36:37]
	v_add_f64 v[38:39], v[239:240], v[38:39]
	v_add_f64 v[36:37], v[241:242], v[36:37]
	v_fma_f64 v[243:244], v[120:121], s[30:31], v[30:31]
	v_fma_f64 v[120:121], v[120:121], s[46:47], v[30:31]
	v_mul_f64 v[30:31], v[104:105], s[22:23]
	v_add_f64 v[173:174], v[219:220], -v[173:174]
	v_mul_f64 v[219:220], v[106:107], s[20:21]
	v_add_f64 v[38:39], v[233:234], v[38:39]
	v_add_f64 v[36:37], v[235:236], v[36:37]
	;; [unrolled: 1-line block ×5, first 2 shown]
	v_mul_f64 v[231:232], v[106:107], s[38:39]
	v_mul_f64 v[120:121], v[104:105], s[6:7]
	v_add_f64 v[50:51], v[173:174], v[50:51]
	v_add_f64 v[175:176], v[219:220], -v[175:176]
	v_mul_f64 v[219:220], v[112:113], s[22:23]
	v_add_f64 v[38:39], v[199:200], v[38:39]
	v_add_f64 v[36:37], v[217:218], v[36:37]
	;; [unrolled: 1-line block ×4, first 2 shown]
	v_add_f64 v[108:109], v[231:232], -v[108:109]
	v_mul_f64 v[231:232], v[88:89], s[52:53]
	v_mul_f64 v[88:89], v[88:89], s[46:47]
	v_add_f64 v[50:51], v[175:176], v[50:51]
	v_add_f64 v[181:182], v[219:220], -v[181:182]
	v_mul_f64 v[219:220], v[148:149], s[38:39]
	v_add_f64 v[38:39], v[128:129], v[38:39]
	v_add_f64 v[36:37], v[136:137], v[36:37]
	;; [unrolled: 1-line block ×4, first 2 shown]
	v_fma_f64 v[239:240], v[90:91], s[8:9], v[231:232]
	v_fma_f64 v[231:232], v[90:91], s[8:9], -v[231:232]
	v_add_f64 v[187:188], v[219:220], -v[187:188]
	v_mul_f64 v[219:220], v[118:119], s[38:39]
	v_add_f64 v[36:37], v[84:85], v[36:37]
	v_add_f64 v[42:43], v[140:141], v[42:43]
	v_mul_f64 v[84:85], v[157:158], s[6:7]
	v_add_f64 v[70:71], v[239:240], v[70:71]
	v_add_f64 v[66:67], v[231:232], v[66:67]
	v_fma_f64 v[231:232], v[90:91], s[22:23], v[88:89]
	v_fma_f64 v[88:89], v[90:91], s[22:23], -v[88:89]
	v_add_f64 v[155:156], v[155:156], v[219:220]
	v_mul_f64 v[219:220], v[114:115], s[16:17]
	v_add_f64 v[84:85], v[84:85], -v[251:252]
	v_add_f64 v[72:73], v[231:232], v[72:73]
	v_add_f64 v[68:69], v[88:89], v[68:69]
	v_mul_f64 v[88:89], v[110:111], s[44:45]
	v_add_f64 v[52:53], v[155:156], v[52:53]
	v_add_f64 v[159:160], v[159:160], v[219:220]
	v_mul_f64 v[219:220], v[130:131], s[8:9]
	;; [unrolled: 3-line block ×3, first 2 shown]
	v_add_f64 v[171:172], v[171:172], v[219:220]
	v_mul_f64 v[219:220], v[148:149], s[22:23]
	v_add_f64 v[163:164], v[219:220], -v[163:164]
	v_mul_f64 v[219:220], v[90:91], s[38:39]
	v_add_f64 v[138:139], v[219:220], -v[138:139]
	v_mul_f64 v[219:220], v[106:107], s[16:17]
	v_add_f64 v[54:55], v[138:139], v[54:55]
	v_add_f64 v[146:147], v[219:220], -v[146:147]
	v_mul_f64 v[219:220], v[112:113], s[8:9]
	v_add_f64 v[54:55], v[146:147], v[54:55]
	;; [unrolled: 3-line block ×3, first 2 shown]
	v_add_f64 v[116:117], v[116:117], v[219:220]
	v_mul_f64 v[219:220], v[161:162], s[20:21]
	v_add_f64 v[54:55], v[163:164], v[54:55]
	v_add_f64 v[56:57], v[116:117], v[56:57]
	;; [unrolled: 1-line block ×3, first 2 shown]
	v_mul_f64 v[219:220], v[114:115], s[38:39]
	v_mul_f64 v[116:117], v[169:170], s[22:23]
	v_add_f64 v[122:123], v[122:123], v[219:220]
	v_mul_f64 v[219:220], v[90:91], s[34:35]
	v_add_f64 v[56:57], v[122:123], v[56:57]
	v_add_f64 v[92:93], v[219:220], -v[92:93]
	v_mul_f64 v[219:220], v[130:131], s[16:17]
	v_add_f64 v[58:59], v[92:93], v[58:59]
	v_add_f64 v[126:127], v[126:127], v[219:220]
	v_mul_f64 v[219:220], v[118:119], s[6:7]
	v_fma_f64 v[92:93], v[106:107], s[36:37], v[88:89]
	v_fma_f64 v[88:89], v[106:107], s[36:37], -v[88:89]
	v_mul_f64 v[118:119], v[118:119], s[20:21]
	v_add_f64 v[58:59], v[108:109], v[58:59]
	v_mul_f64 v[108:109], v[157:158], s[8:9]
	s_waitcnt vmcnt(0)
	v_add_f64 v[219:220], v[0:1], v[219:220]
	s_clause 0x1
	buffer_load_dword v0, off, s[60:63], 0 offset:428
	buffer_load_dword v1, off, s[60:63], 0 offset:432
	v_add_f64 v[66:67], v[88:89], v[66:67]
	v_mul_f64 v[88:89], v[110:111], s[4:5]
	v_add_f64 v[70:71], v[92:93], v[70:71]
	v_add_f64 v[110:111], v[167:168], v[52:53]
	v_mul_f64 v[52:53], v[177:178], s[18:19]
	v_add_f64 v[56:57], v[126:127], v[56:57]
	v_add_f64 v[60:61], v[219:220], v[60:61]
	v_fma_f64 v[92:93], v[106:107], s[6:7], v[88:89]
	v_fma_f64 v[88:89], v[106:107], s[6:7], -v[88:89]
	v_add_f64 v[56:57], v[134:135], v[56:57]
	v_add_f64 v[72:73], v[92:93], v[72:73]
	;; [unrolled: 1-line block ×3, first 2 shown]
	v_mul_f64 v[88:89], v[132:133], s[48:49]
	v_fma_f64 v[92:93], v[112:113], s[20:21], v[88:89]
	v_fma_f64 v[88:89], v[112:113], s[20:21], -v[88:89]
	v_add_f64 v[70:71], v[92:93], v[70:71]
	v_add_f64 v[66:67], v[88:89], v[66:67]
	v_mul_f64 v[88:89], v[132:133], s[54:55]
	v_fma_f64 v[92:93], v[112:113], s[34:35], v[88:89]
	v_fma_f64 v[88:89], v[112:113], s[34:35], -v[88:89]
	v_add_f64 v[72:73], v[92:93], v[72:73]
	v_add_f64 v[68:69], v[88:89], v[68:69]
	;; [unrolled: 1-line block ×3, first 2 shown]
	v_mul_f64 v[48:49], v[177:178], s[40:41]
	v_add_f64 v[92:93], v[181:182], v[50:51]
	v_fma_f64 v[50:51], v[148:149], s[34:35], v[48:49]
	v_fma_f64 v[48:49], v[148:149], s[34:35], -v[48:49]
	v_add_f64 v[50:51], v[50:51], v[70:71]
	v_add_f64 v[70:71], v[195:196], v[40:41]
	v_fma_f64 v[40:41], v[148:149], s[8:9], -v[52:53]
	v_add_f64 v[48:49], v[48:49], v[66:67]
	v_fma_f64 v[66:67], v[148:149], s[8:9], v[52:53]
	v_add_f64 v[52:53], v[40:41], v[68:69]
	v_add_f64 v[68:69], v[82:83], v[38:39]
	v_mul_f64 v[38:39], v[179:180], s[46:47]
	v_add_f64 v[66:67], v[66:67], v[72:73]
	v_add_f64 v[72:73], v[227:228], v[44:45]
	;; [unrolled: 1-line block ×3, first 2 shown]
	v_mul_f64 v[78:79], v[114:115], s[22:23]
	v_mul_f64 v[82:83], v[106:107], s[22:23]
	v_add_f64 v[68:69], v[76:77], v[68:69]
	v_fma_f64 v[40:41], v[157:158], s[22:23], v[38:39]
	v_fma_f64 v[38:39], v[157:158], s[22:23], -v[38:39]
	v_mul_f64 v[76:77], v[106:107], s[34:35]
	v_mul_f64 v[106:107], v[165:166], s[8:9]
	v_add_f64 v[50:51], v[40:41], v[50:51]
	v_add_f64 v[40:41], v[86:87], v[42:43]
	v_mul_f64 v[42:43], v[179:180], s[42:43]
	v_add_f64 v[48:49], v[38:39], v[48:49]
	v_mul_f64 v[86:87], v[165:166], s[36:37]
	v_fma_f64 v[38:39], v[157:158], s[38:39], v[42:43]
	v_fma_f64 v[42:43], v[157:158], s[38:39], -v[42:43]
	v_add_f64 v[38:39], v[38:39], v[66:67]
	v_add_f64 v[66:67], v[124:125], v[70:71]
	;; [unrolled: 1-line block ×4, first 2 shown]
	v_mul_f64 v[46:47], v[183:184], s[10:11]
	s_waitcnt vmcnt(0)
	v_add_f64 v[225:226], v[225:226], -v[0:1]
	s_clause 0x1
	buffer_load_dword v0, off, s[60:63], 0 offset:92
	buffer_load_dword v1, off, s[60:63], 0 offset:96
	v_fma_f64 v[42:43], v[153:154], s[16:17], v[46:47]
	v_fma_f64 v[36:37], v[153:154], s[16:17], -v[46:47]
	v_add_f64 v[46:47], v[80:81], v[66:67]
	v_mul_f64 v[66:67], v[183:184], s[48:49]
	v_mul_f64 v[80:81], v[112:113], s[16:17]
	v_add_f64 v[62:63], v[225:226], v[62:63]
	v_add_f64 v[42:43], v[42:43], v[50:51]
	;; [unrolled: 1-line block ×4, first 2 shown]
	v_fma_f64 v[48:49], v[153:154], s[20:21], -v[66:67]
	v_mul_f64 v[72:73], v[114:115], s[34:35]
	v_mul_f64 v[114:115], v[169:170], s[6:7]
	v_fma_f64 v[66:67], v[153:154], s[20:21], v[66:67]
	v_add_f64 v[48:49], v[48:49], v[70:71]
	v_mul_f64 v[70:71], v[90:91], s[20:21]
	v_mul_f64 v[90:91], v[157:158], s[36:37]
	s_waitcnt vmcnt(0)
	v_add_f64 v[118:119], v[0:1], v[118:119]
	s_clause 0x1
	buffer_load_dword v0, off, s[60:63], 0 offset:44
	buffer_load_dword v1, off, s[60:63], 0 offset:48
	v_add_f64 v[64:65], v[118:119], v[64:65]
	v_mul_f64 v[118:119], v[169:170], s[36:37]
	s_waitcnt vmcnt(0)
	v_add_f64 v[70:71], v[70:71], -v[0:1]
	s_clause 0x1
	buffer_load_dword v0, off, s[60:63], 0 offset:316
	buffer_load_dword v1, off, s[60:63], 0 offset:320
	v_add_f64 v[70:71], v[70:71], v[74:75]
	v_mul_f64 v[74:75], v[130:131], s[38:39]
	s_waitcnt vmcnt(0)
	v_add_f64 v[72:73], v[0:1], v[72:73]
	s_clause 0x1
	buffer_load_dword v0, off, s[60:63], 0 offset:300
	buffer_load_dword v1, off, s[60:63], 0 offset:304
	v_add_f64 v[60:61], v[72:73], v[60:61]
	v_mul_f64 v[72:73], v[112:113], s[38:39]
	s_waitcnt vmcnt(0)
	v_add_f64 v[76:77], v[76:77], -v[0:1]
	s_clause 0x1
	buffer_load_dword v0, off, s[60:63], 0 offset:76
	buffer_load_dword v1, off, s[60:63], 0 offset:80
	v_add_f64 v[62:63], v[76:77], v[62:63]
	v_mul_f64 v[76:77], v[130:131], s[6:7]
	s_waitcnt vmcnt(0)
	v_add_f64 v[78:79], v[0:1], v[78:79]
	s_clause 0x1
	buffer_load_dword v0, off, s[60:63], 0 offset:372
	buffer_load_dword v1, off, s[60:63], 0 offset:376
	v_add_f64 v[64:65], v[78:79], v[64:65]
	v_mul_f64 v[78:79], v[112:113], s[6:7]
	v_mul_f64 v[112:113], v[165:166], s[34:35]
	s_waitcnt vmcnt(0)
	v_add_f64 v[80:81], v[80:81], -v[0:1]
	s_clause 0x1
	buffer_load_dword v0, off, s[60:63], 0 offset:60
	buffer_load_dword v1, off, s[60:63], 0 offset:64
	v_add_f64 v[58:59], v[80:81], v[58:59]
	v_mul_f64 v[80:81], v[161:162], s[36:37]
	s_waitcnt vmcnt(0)
	v_add_f64 v[82:83], v[82:83], -v[0:1]
	s_clause 0x1
	buffer_load_dword v0, off, s[60:63], 0 offset:292
	buffer_load_dword v1, off, s[60:63], 0 offset:296
	v_add_f64 v[70:71], v[82:83], v[70:71]
	v_mul_f64 v[82:83], v[148:149], s[20:21]
	s_waitcnt vmcnt(0)
	v_add_f64 v[74:75], v[0:1], v[74:75]
	s_clause 0x1
	buffer_load_dword v0, off, s[60:63], 0 offset:284
	buffer_load_dword v1, off, s[60:63], 0 offset:288
	v_add_f64 v[60:61], v[74:75], v[60:61]
	v_mul_f64 v[74:75], v[148:149], s[36:37]
	s_waitcnt vmcnt(0)
	v_add_f64 v[72:73], v[72:73], -v[0:1]
	s_clause 0x1
	buffer_load_dword v0, off, s[60:63], 0 offset:124
	buffer_load_dword v1, off, s[60:63], 0 offset:128
	v_add_f64 v[62:63], v[72:73], v[62:63]
	v_mul_f64 v[72:73], v[161:162], s[16:17]
	s_waitcnt vmcnt(0)
	v_add_f64 v[76:77], v[0:1], v[76:77]
	s_clause 0x1
	buffer_load_dword v0, off, s[60:63], 0 offset:108
	buffer_load_dword v1, off, s[60:63], 0 offset:112
	v_add_f64 v[64:65], v[76:77], v[64:65]
	v_mul_f64 v[76:77], v[148:149], s[16:17]
	s_waitcnt vmcnt(0)
	v_add_f64 v[78:79], v[78:79], -v[0:1]
	s_clause 0x1
	buffer_load_dword v0, off, s[60:63], 0 offset:364
	buffer_load_dword v1, off, s[60:63], 0 offset:368
	v_add_f64 v[70:71], v[78:79], v[70:71]
	v_add_f64 v[78:79], v[193:194], v[88:89]
	;; [unrolled: 1-line block ×3, first 2 shown]
	v_mul_f64 v[110:111], v[165:166], s[16:17]
	v_add_f64 v[78:79], v[197:198], v[78:79]
	s_waitcnt vmcnt(0)
	v_add_f64 v[82:83], v[82:83], -v[0:1]
	s_clause 0x1
	buffer_load_dword v0, off, s[60:63], 0 offset:276
	buffer_load_dword v1, off, s[60:63], 0 offset:280
	v_add_f64 v[58:59], v[82:83], v[58:59]
	v_mul_f64 v[82:83], v[153:154], s[8:9]
	s_waitcnt vmcnt(0)
	v_add_f64 v[80:81], v[0:1], v[80:81]
	s_clause 0x1
	buffer_load_dword v0, off, s[60:63], 0 offset:260
	buffer_load_dword v1, off, s[60:63], 0 offset:264
	v_add_f64 v[60:61], v[80:81], v[60:61]
	v_mul_f64 v[80:81], v[157:158], s[16:17]
	s_waitcnt vmcnt(0)
	v_add_f64 v[74:75], v[74:75], -v[0:1]
	s_clause 0x1
	buffer_load_dword v0, off, s[60:63], 0 offset:180
	buffer_load_dword v1, off, s[60:63], 0 offset:184
	v_add_f64 v[62:63], v[74:75], v[62:63]
	v_add_f64 v[74:75], v[187:188], v[92:93]
	v_mul_f64 v[92:93], v[169:170], s[34:35]
	s_waitcnt vmcnt(0)
	v_add_f64 v[72:73], v[0:1], v[72:73]
	s_clause 0x1
	buffer_load_dword v0, off, s[60:63], 0 offset:156
	buffer_load_dword v1, off, s[60:63], 0 offset:160
	v_add_f64 v[64:65], v[72:73], v[64:65]
	v_mul_f64 v[72:73], v[157:158], s[34:35]
	s_waitcnt vmcnt(0)
	v_add_f64 v[76:77], v[76:77], -v[0:1]
	s_clause 0x1
	buffer_load_dword v0, off, s[60:63], 0 offset:404
	buffer_load_dword v1, off, s[60:63], 0 offset:408
	v_add_f64 v[70:71], v[76:77], v[70:71]
	v_mul_f64 v[76:77], v[169:170], s[8:9]
	s_waitcnt vmcnt(0)
	v_add_f64 v[86:87], v[0:1], v[86:87]
	s_clause 0x1
	buffer_load_dword v0, off, s[60:63], 0 offset:396
	buffer_load_dword v1, off, s[60:63], 0 offset:400
	v_add_f64 v[86:87], v[86:87], v[88:89]
	v_mul_f64 v[88:89], v[153:154], s[34:35]
	s_waitcnt vmcnt(0)
	v_add_f64 v[90:91], v[90:91], -v[0:1]
	s_clause 0x1
	buffer_load_dword v0, off, s[60:63], 0 offset:340
	buffer_load_dword v1, off, s[60:63], 0 offset:344
	;; [unrolled: 14-line block ×3, first 2 shown]
	v_add_f64 v[58:59], v[108:109], v[58:59]
	v_mul_f64 v[108:109], v[104:105], s[8:9]
	v_add_f64 v[108:109], v[6:7], v[108:109]
	s_waitcnt vmcnt(0)
	v_add_f64 v[110:111], v[0:1], v[110:111]
	s_clause 0x1
	buffer_load_dword v0, off, s[60:63], 0 offset:244
	buffer_load_dword v1, off, s[60:63], 0 offset:248
	v_add_f64 v[60:61], v[110:111], v[60:61]
	v_mul_f64 v[110:111], v[153:154], s[22:23]
	s_waitcnt vmcnt(0)
	v_add_f64 v[80:81], v[80:81], -v[0:1]
	s_clause 0x1
	buffer_load_dword v0, off, s[60:63], 0 offset:188
	buffer_load_dword v1, off, s[60:63], 0 offset:192
	v_add_f64 v[62:63], v[80:81], v[62:63]
	v_mul_f64 v[80:81], v[104:105], s[20:21]
	s_waitcnt vmcnt(0)
	v_add_f64 v[112:113], v[0:1], v[112:113]
	s_clause 0x1
	buffer_load_dword v0, off, s[60:63], 0 offset:172
	buffer_load_dword v1, off, s[60:63], 0 offset:176
	v_add_f64 v[64:65], v[112:113], v[64:65]
	v_mul_f64 v[112:113], v[153:154], s[36:37]
	s_waitcnt vmcnt(0)
	v_add_f64 v[72:73], v[72:73], -v[0:1]
	s_clause 0x1
	buffer_load_dword v0, off, s[60:63], 0 offset:452
	buffer_load_dword v1, off, s[60:63], 0 offset:456
	v_add_f64 v[70:71], v[72:73], v[70:71]
	v_add_f64 v[72:73], v[84:85], v[74:75]
	v_mul_f64 v[74:75], v[104:105], s[34:35]
	s_waitcnt vmcnt(0)
	v_add_f64 v[76:77], v[0:1], v[76:77]
	s_clause 0x1
	buffer_load_dword v0, off, s[60:63], 0 offset:436
	buffer_load_dword v1, off, s[60:63], 0 offset:440
	v_add_f64 v[76:77], v[76:77], v[78:79]
	v_mul_f64 v[78:79], v[94:95], s[34:35]
	s_waitcnt vmcnt(0)
	v_add_f64 v[82:83], v[82:83], -v[0:1]
	s_clause 0x1
	buffer_load_dword v0, off, s[60:63], 0 offset:388
	buffer_load_dword v1, off, s[60:63], 0 offset:392
	v_add_f64 v[72:73], v[82:83], v[72:73]
	s_waitcnt vmcnt(0)
	v_add_f64 v[92:93], v[0:1], v[92:93]
	s_clause 0x1
	buffer_load_dword v0, off, s[60:63], 0 offset:380
	buffer_load_dword v1, off, s[60:63], 0 offset:384
	v_add_f64 v[84:85], v[92:93], v[86:87]
	v_mul_f64 v[86:87], v[94:95], s[20:21]
	v_mul_f64 v[92:93], v[94:95], s[36:37]
	v_add_f64 v[92:93], v[92:93], -v[245:246]
	s_waitcnt vmcnt(0)
	v_add_f64 v[88:89], v[88:89], -v[0:1]
	s_clause 0x1
	buffer_load_dword v0, off, s[60:63], 0 offset:324
	buffer_load_dword v1, off, s[60:63], 0 offset:328
	v_add_f64 v[88:89], v[88:89], v[54:55]
	s_waitcnt vmcnt(0)
	v_add_f64 v[114:115], v[0:1], v[114:115]
	s_clause 0x1
	buffer_load_dword v0, off, s[60:63], 0 offset:308
	buffer_load_dword v1, off, s[60:63], 0 offset:312
	v_add_f64 v[56:57], v[114:115], v[56:57]
	v_mul_f64 v[114:115], v[94:95], s[8:9]
	s_waitcnt vmcnt(0)
	v_add_f64 v[106:107], v[106:107], -v[0:1]
	s_clause 0x1
	buffer_load_dword v0, off, s[60:63], 0 offset:236
	buffer_load_dword v1, off, s[60:63], 0 offset:240
	v_add_f64 v[106:107], v[106:107], v[58:59]
	s_waitcnt vmcnt(0)
	v_add_f64 v[116:117], v[0:1], v[116:117]
	s_clause 0x1
	buffer_load_dword v0, off, s[60:63], 0 offset:228
	buffer_load_dword v1, off, s[60:63], 0 offset:232
	v_add_f64 v[60:61], v[116:117], v[60:61]
	v_mul_f64 v[116:117], v[104:105], s[38:39]
	v_mul_f64 v[104:105], v[104:105], s[16:17]
	v_fma_f64 v[122:123], v[96:97], s[10:11], v[104:105]
	s_waitcnt vmcnt(0)
	v_add_f64 v[110:111], v[110:111], -v[0:1]
	s_clause 0x1
	buffer_load_dword v0, off, s[60:63], 0 offset:196
	buffer_load_dword v1, off, s[60:63], 0 offset:200
	v_add_f64 v[110:111], v[110:111], v[62:63]
	v_fma_f64 v[62:63], v[96:97], s[4:5], v[120:121]
	v_fma_f64 v[120:121], v[96:97], s[28:29], v[120:121]
	;; [unrolled: 1-line block ×3, first 2 shown]
	v_add_f64 v[104:105], v[28:29], v[40:41]
	v_add_f64 v[40:41], v[122:123], v[46:47]
	;; [unrolled: 1-line block ×5, first 2 shown]
	s_waitcnt vmcnt(0)
	v_add_f64 v[118:119], v[0:1], v[118:119]
	s_clause 0x1
	buffer_load_dword v0, off, s[60:63], 0 offset:164
	buffer_load_dword v1, off, s[60:63], 0 offset:168
	v_add_f64 v[64:65], v[118:119], v[64:65]
	v_mul_f64 v[118:119], v[94:95], s[38:39]
	s_waitcnt vmcnt(0)
	v_add_f64 v[112:113], v[112:113], -v[0:1]
	s_clause 0x1
	buffer_load_dword v0, off, s[60:63], 0 offset:420
	buffer_load_dword v1, off, s[60:63], 0 offset:424
	v_add_f64 v[70:71], v[112:113], v[70:71]
	v_mul_f64 v[112:113], v[98:99], s[28:29]
	v_mul_f64 v[98:99], v[98:99], s[10:11]
	v_fma_f64 v[58:59], v[94:95], s[6:7], v[112:113]
	v_fma_f64 v[82:83], v[94:95], s[16:17], -v[98:99]
	v_fma_f64 v[68:69], v[94:95], s[6:7], -v[112:113]
	v_add_f64 v[112:113], v[34:35], v[52:53]
	v_fma_f64 v[94:95], v[94:95], s[16:17], v[98:99]
	v_add_f64 v[98:99], v[66:67], v[38:39]
	v_add_f64 v[34:35], v[30:31], v[50:51]
	;; [unrolled: 1-line block ×7, first 2 shown]
	s_waitcnt vmcnt(0)
	v_add_f64 v[74:75], v[0:1], v[74:75]
	s_clause 0x1
	buffer_load_dword v0, off, s[60:63], 0 offset:412
	buffer_load_dword v1, off, s[60:63], 0 offset:416
	v_add_f64 v[44:45], v[74:75], v[76:77]
	s_waitcnt vmcnt(0)
	v_add_f64 v[78:79], v[78:79], -v[0:1]
	s_clause 0x1
	buffer_load_dword v0, off, s[60:63], 0 offset:356
	buffer_load_dword v1, off, s[60:63], 0 offset:360
	v_add_f64 v[42:43], v[78:79], v[72:73]
	s_waitcnt vmcnt(0)
	v_add_f64 v[80:81], v[0:1], v[80:81]
	s_clause 0x1
	buffer_load_dword v0, off, s[60:63], 0 offset:348
	buffer_load_dword v1, off, s[60:63], 0 offset:352
	v_add_f64 v[48:49], v[80:81], v[84:85]
	s_waitcnt vmcnt(0)
	v_add_f64 v[86:87], v[86:87], -v[0:1]
	s_clause 0x1
	buffer_load_dword v0, off, s[60:63], 0 offset:268
	buffer_load_dword v1, off, s[60:63], 0 offset:272
	v_add_f64 v[46:47], v[86:87], v[88:89]
	s_waitcnt vmcnt(0)
	v_add_f64 v[90:91], v[0:1], v[90:91]
	s_clause 0x1
	buffer_load_dword v0, off, s[60:63], 0 offset:220
	buffer_load_dword v1, off, s[60:63], 0 offset:224
	v_add_f64 v[58:59], v[90:91], v[56:57]
	v_add_f64 v[56:57], v[92:93], v[106:107]
	s_waitcnt vmcnt(0)
	v_add_f64 v[114:115], v[114:115], -v[0:1]
	s_clause 0x1
	buffer_load_dword v0, off, s[60:63], 0 offset:212
	buffer_load_dword v1, off, s[60:63], 0 offset:216
	v_add_f64 v[60:61], v[114:115], v[110:111]
	s_waitcnt vmcnt(0)
	v_add_f64 v[116:117], v[0:1], v[116:117]
	s_clause 0x1
	buffer_load_dword v0, off, s[60:63], 0 offset:204
	buffer_load_dword v1, off, s[60:63], 0 offset:208
	v_add_f64 v[66:67], v[116:117], v[64:65]
	s_waitcnt vmcnt(0)
	v_add_f64 v[118:119], v[118:119], -v[0:1]
	buffer_load_dword v1, off, s[60:63], 0  ; 4-byte Folded Reload
	v_mul_lo_u16 v0, v152, 17
	v_and_b32_e32 v0, 0xffff, v0
	v_add_f64 v[64:65], v[118:119], v[70:71]
	v_add_f64 v[70:71], v[96:97], v[104:105]
	s_waitcnt vmcnt(0)
	v_add_lshl_u32 v0, v1, v0, 4
	ds_write_b128 v0, v[20:23]
	ds_write_b128 v0, v[64:67] offset:16
	ds_write_b128 v0, v[60:63] offset:32
	;; [unrolled: 1-line block ×14, first 2 shown]
	s_clause 0x3
	buffer_load_dword v20, off, s[60:63], 0 offset:28
	buffer_load_dword v21, off, s[60:63], 0 offset:32
	;; [unrolled: 1-line block ×4, first 2 shown]
	s_waitcnt vmcnt(0)
	ds_write_b128 v0, v[20:23] offset:240
	ds_write_b128 v0, v[2:5] offset:256
.LBB0_7:
	s_or_b32 exec_lo, exec_lo, s33
	s_load_dwordx4 s[4:7], s[0:1], 0x0
	s_waitcnt lgkmcnt(0)
	s_barrier
	buffer_gl0_inv
	buffer_load_dword v1, off, s[60:63], 0  ; 4-byte Folded Reload
	v_and_b32_e32 v0, 0xff, v152
	s_mov_b32 s24, 0xf8bb580b
	s_mov_b32 s8, 0x43842ef
	s_mov_b32 s20, 0xbb3a28a1
	s_mov_b32 s26, 0xfd768dbf
	v_mul_lo_u16 v0, 0xf1, v0
	s_mov_b32 s25, 0xbfe14ced
	s_mov_b32 s11, 0xbfed1bb4
	;; [unrolled: 1-line block ×4, first 2 shown]
	v_lshrrev_b16 v125, 12, v0
	s_mov_b32 s21, 0xbfe82f19
	s_mov_b32 s27, 0xbfd207e7
	;; [unrolled: 1-line block ×4, first 2 shown]
	v_mul_lo_u16 v0, v125, 17
	s_mov_b32 s0, 0x640f44db
	s_mov_b32 s22, 0x7f775887
	;; [unrolled: 1-line block ×4, first 2 shown]
	v_sub_nc_u16 v124, v152, v0
	v_mov_b32_e32 v0, 10
	s_mov_b32 s17, 0x3fda9628
	s_mov_b32 s1, 0xbfc2375f
	;; [unrolled: 1-line block ×4, first 2 shown]
	v_mul_u32_u24_sdwa v0, v124, v0 dst_sel:DWORD dst_unused:UNUSED_PAD src0_sel:BYTE_0 src1_sel:DWORD
	s_mov_b32 s37, 0x3fd207e7
	s_mov_b32 s36, s26
	;; [unrolled: 1-line block ×4, first 2 shown]
	v_lshlrev_b32_e32 v0, 4, v0
	s_mov_b32 s31, 0x3fe14ced
	s_mov_b32 s30, s24
	s_waitcnt vmcnt(0)
	v_add_lshl_u32 v249, v1, v152, 4
	ds_read_b128 v[64:67], v249
	ds_read_b128 v[32:35], v249 offset:1632
	ds_read_b128 v[36:39], v249 offset:3264
	;; [unrolled: 1-line block ×10, first 2 shown]
	s_clause 0x7
	global_load_dwordx4 v[209:212], v0, s[2:3] offset:48
	global_load_dwordx4 v[213:216], v0, s[2:3] offset:32
	;; [unrolled: 1-line block ×3, first 2 shown]
	global_load_dwordx4 v[24:27], v0, s[2:3]
	global_load_dwordx4 v[20:23], v0, s[2:3] offset:112
	global_load_dwordx4 v[229:232], v0, s[2:3] offset:96
	;; [unrolled: 1-line block ×4, first 2 shown]
	s_waitcnt vmcnt(4) lgkmcnt(9)
	v_mul_f64 v[68:69], v[34:35], v[26:27]
	v_fma_f64 v[112:113], v[32:33], v[24:25], -v[68:69]
	s_waitcnt vmcnt(0) lgkmcnt(5)
	v_mul_f64 v[68:69], v[54:55], v[227:228]
	v_mul_f64 v[32:33], v[32:33], v[26:27]
	v_fma_f64 v[72:73], v[52:53], v[225:226], -v[68:69]
	v_mul_f64 v[52:53], v[52:53], v[227:228]
	v_fma_f64 v[114:115], v[34:35], v[24:25], v[32:33]
	v_mul_f64 v[32:33], v[38:39], v[219:220]
	v_fma_f64 v[68:69], v[54:55], v[225:226], v[52:53]
	s_waitcnt lgkmcnt(4)
	v_mul_f64 v[52:53], v[58:59], v[223:224]
	v_fma_f64 v[94:95], v[36:37], v[217:218], -v[32:33]
	v_mul_f64 v[32:33], v[36:37], v[219:220]
	v_fma_f64 v[74:75], v[56:57], v[221:222], -v[52:53]
	v_mul_f64 v[52:53], v[56:57], v[223:224]
	v_fma_f64 v[92:93], v[38:39], v[217:218], v[32:33]
	v_mul_f64 v[32:33], v[42:43], v[215:216]
	v_fma_f64 v[70:71], v[58:59], v[221:222], v[52:53]
	s_waitcnt lgkmcnt(3)
	v_mul_f64 v[52:53], v[62:63], v[231:232]
	v_fma_f64 v[88:89], v[40:41], v[213:214], -v[32:33]
	v_mul_f64 v[32:33], v[40:41], v[215:216]
	v_fma_f64 v[82:83], v[60:61], v[229:230], -v[52:53]
	v_mul_f64 v[52:53], v[60:61], v[231:232]
	v_fma_f64 v[84:85], v[42:43], v[213:214], v[32:33]
	v_mul_f64 v[32:33], v[46:47], v[211:212]
	v_fma_f64 v[78:79], v[62:63], v[229:230], v[52:53]
	s_waitcnt lgkmcnt(2)
	v_mul_f64 v[52:53], v[98:99], v[22:23]
	v_add_f64 v[62:63], v[66:67], v[114:115]
	v_fma_f64 v[80:81], v[44:45], v[209:210], -v[32:33]
	v_mul_f64 v[32:33], v[44:45], v[211:212]
	v_fma_f64 v[90:91], v[96:97], v[20:21], -v[52:53]
	v_mul_f64 v[52:53], v[96:97], v[22:23]
	buffer_store_dword v20, off, s[60:63], 0 offset:44 ; 4-byte Folded Spill
	buffer_store_dword v21, off, s[60:63], 0 offset:48 ; 4-byte Folded Spill
	;; [unrolled: 1-line block ×4, first 2 shown]
	v_add_f64 v[62:63], v[62:63], v[92:93]
	v_fma_f64 v[76:77], v[46:47], v[209:210], v[32:33]
	v_add_f64 v[62:63], v[62:63], v[84:85]
	v_add_f64 v[62:63], v[62:63], v[76:77]
	;; [unrolled: 1-line block ×5, first 2 shown]
	v_fma_f64 v[86:87], v[98:99], v[20:21], v[52:53]
	s_clause 0x1
	global_load_dwordx4 v[20:23], v0, s[2:3] offset:144
	global_load_dwordx4 v[28:31], v0, s[2:3] offset:128
	v_mov_b32_e32 v0, 0xbb
	v_mul_u32_u24_sdwa v0, v125, v0 dst_sel:DWORD dst_unused:UNUSED_PAD src0_sel:WORD_0 src1_sel:DWORD
	v_add_nc_u32_sdwa v0, v0, v124 dst_sel:DWORD dst_unused:UNUSED_PAD src0_sel:DWORD src1_sel:BYTE_0
	v_add_lshl_u32 v251, v1, v0, 4
	v_add_f64 v[62:63], v[62:63], v[86:87]
	s_waitcnt vmcnt(0) lgkmcnt(1)
	v_mul_f64 v[60:61], v[106:107], v[30:31]
	v_fma_f64 v[98:99], v[104:105], v[28:29], -v[60:61]
	v_mul_f64 v[60:61], v[104:105], v[30:31]
	buffer_store_dword v28, off, s[60:63], 0 offset:76 ; 4-byte Folded Spill
	buffer_store_dword v29, off, s[60:63], 0 offset:80 ; 4-byte Folded Spill
	;; [unrolled: 1-line block ×4, first 2 shown]
	v_fma_f64 v[96:97], v[106:107], v[28:29], v[60:61]
	s_waitcnt lgkmcnt(0)
	v_mul_f64 v[60:61], v[110:111], v[22:23]
	v_add_f64 v[62:63], v[62:63], v[96:97]
	v_fma_f64 v[104:105], v[108:109], v[20:21], -v[60:61]
	v_mul_f64 v[60:61], v[108:109], v[22:23]
	buffer_store_dword v20, off, s[60:63], 0 offset:60 ; 4-byte Folded Spill
	buffer_store_dword v21, off, s[60:63], 0 offset:64 ; 4-byte Folded Spill
	;; [unrolled: 1-line block ×4, first 2 shown]
	s_waitcnt_vscnt null, 0x0
	s_barrier
	buffer_gl0_inv
	v_add_f64 v[108:109], v[112:113], v[104:105]
	v_fma_f64 v[106:107], v[110:111], v[20:21], v[60:61]
	v_add_f64 v[60:61], v[64:65], v[112:113]
	v_add_f64 v[62:63], v[62:63], v[106:107]
	;; [unrolled: 1-line block ×4, first 2 shown]
	v_add_f64 v[106:107], v[114:115], -v[106:107]
	v_add_f64 v[60:61], v[60:61], v[88:89]
	v_mul_f64 v[120:121], v[106:107], s[10:11]
	v_mul_f64 v[130:131], v[106:107], s[8:9]
	;; [unrolled: 1-line block ×3, first 2 shown]
	v_add_f64 v[60:61], v[60:61], v[80:81]
	v_fma_f64 v[122:123], v[108:109], s[16:17], -v[120:121]
	v_fma_f64 v[120:121], v[108:109], s[16:17], v[120:121]
	v_fma_f64 v[132:133], v[108:109], s[0:1], -v[130:131]
	v_fma_f64 v[130:131], v[108:109], s[0:1], v[130:131]
	;; [unrolled: 2-line block ×3, first 2 shown]
	v_add_f64 v[60:61], v[60:61], v[72:73]
	v_add_f64 v[122:123], v[64:65], v[122:123]
	;; [unrolled: 1-line block ×12, first 2 shown]
	v_add_f64 v[104:105], v[112:113], -v[104:105]
	v_mul_f64 v[112:113], v[106:107], s[24:25]
	v_mul_f64 v[106:107], v[106:107], s[26:27]
	;; [unrolled: 1-line block ×3, first 2 shown]
	v_fma_f64 v[114:115], v[108:109], s[18:19], -v[112:113]
	v_fma_f64 v[112:113], v[108:109], s[18:19], v[112:113]
	v_mul_f64 v[126:127], v[104:105], s[10:11]
	v_mul_f64 v[134:135], v[104:105], s[8:9]
	;; [unrolled: 1-line block ×3, first 2 shown]
	v_fma_f64 v[146:147], v[108:109], s[28:29], -v[106:107]
	v_mul_f64 v[104:105], v[104:105], s[26:27]
	v_fma_f64 v[106:107], v[108:109], s[28:29], v[106:107]
	v_fma_f64 v[118:119], v[110:111], s[18:19], v[116:117]
	v_add_f64 v[114:115], v[64:65], v[114:115]
	v_add_f64 v[112:113], v[64:65], v[112:113]
	v_fma_f64 v[116:117], v[110:111], s[18:19], -v[116:117]
	v_fma_f64 v[128:129], v[110:111], s[16:17], v[126:127]
	v_fma_f64 v[126:127], v[110:111], s[16:17], -v[126:127]
	v_fma_f64 v[136:137], v[110:111], s[0:1], v[134:135]
	;; [unrolled: 2-line block ×3, first 2 shown]
	v_fma_f64 v[142:143], v[110:111], s[22:23], -v[142:143]
	v_add_f64 v[146:147], v[64:65], v[146:147]
	v_fma_f64 v[148:149], v[110:111], s[28:29], v[104:105]
	v_add_f64 v[64:65], v[64:65], v[106:107]
	v_fma_f64 v[104:105], v[110:111], s[28:29], -v[104:105]
	v_add_f64 v[106:107], v[92:93], v[96:97]
	v_add_f64 v[92:93], v[92:93], -v[96:97]
	v_add_f64 v[118:119], v[66:67], v[118:119]
	v_add_f64 v[116:117], v[66:67], v[116:117]
	;; [unrolled: 1-line block ×11, first 2 shown]
	v_mul_f64 v[96:97], v[92:93], s[10:11]
	v_add_f64 v[94:95], v[94:95], -v[98:99]
	v_fma_f64 v[98:99], v[104:105], s[16:17], -v[96:97]
	v_fma_f64 v[96:97], v[104:105], s[16:17], v[96:97]
	v_mul_f64 v[108:109], v[94:95], s[10:11]
	s_mov_b32 s11, 0x3fed1bb4
	v_add_f64 v[98:99], v[98:99], v[114:115]
	v_add_f64 v[96:97], v[96:97], v[112:113]
	v_mul_f64 v[112:113], v[92:93], s[20:21]
	v_fma_f64 v[110:111], v[106:107], s[16:17], v[108:109]
	v_fma_f64 v[108:109], v[106:107], s[16:17], -v[108:109]
	v_fma_f64 v[114:115], v[104:105], s[22:23], -v[112:113]
	v_fma_f64 v[112:113], v[104:105], s[22:23], v[112:113]
	v_add_f64 v[108:109], v[108:109], v[116:117]
	v_mul_f64 v[116:117], v[94:95], s[20:21]
	v_add_f64 v[110:111], v[110:111], v[118:119]
	v_add_f64 v[114:115], v[114:115], v[122:123]
	;; [unrolled: 1-line block ×3, first 2 shown]
	v_mul_f64 v[120:121], v[92:93], s[36:37]
	v_fma_f64 v[118:119], v[106:107], s[22:23], v[116:117]
	v_fma_f64 v[116:117], v[106:107], s[22:23], -v[116:117]
	v_fma_f64 v[122:123], v[104:105], s[28:29], -v[120:121]
	v_fma_f64 v[120:121], v[104:105], s[28:29], v[120:121]
	v_add_f64 v[116:117], v[116:117], v[126:127]
	v_mul_f64 v[126:127], v[94:95], s[36:37]
	v_add_f64 v[118:119], v[118:119], v[128:129]
	v_add_f64 v[122:123], v[122:123], v[132:133]
	;; [unrolled: 1-line block ×3, first 2 shown]
	v_mul_f64 v[130:131], v[92:93], s[34:35]
	v_fma_f64 v[128:129], v[106:107], s[28:29], v[126:127]
	v_fma_f64 v[126:127], v[106:107], s[28:29], -v[126:127]
	v_mul_f64 v[92:93], v[92:93], s[30:31]
	v_fma_f64 v[132:133], v[104:105], s[0:1], -v[130:131]
	v_fma_f64 v[130:131], v[104:105], s[0:1], v[130:131]
	v_add_f64 v[126:127], v[126:127], v[134:135]
	v_mul_f64 v[134:135], v[94:95], s[34:35]
	v_mul_f64 v[94:95], v[94:95], s[30:31]
	v_add_f64 v[128:129], v[128:129], v[136:137]
	v_add_f64 v[132:133], v[132:133], v[140:141]
	;; [unrolled: 1-line block ×3, first 2 shown]
	v_fma_f64 v[138:139], v[104:105], s[18:19], -v[92:93]
	v_fma_f64 v[92:93], v[104:105], s[18:19], v[92:93]
	v_fma_f64 v[140:141], v[106:107], s[18:19], v[94:95]
	;; [unrolled: 1-line block ×3, first 2 shown]
	v_fma_f64 v[134:135], v[106:107], s[0:1], -v[134:135]
	v_add_f64 v[138:139], v[138:139], v[146:147]
	v_add_f64 v[64:65], v[92:93], v[64:65]
	v_fma_f64 v[92:93], v[106:107], s[18:19], -v[94:95]
	v_add_f64 v[94:95], v[84:85], v[86:87]
	v_add_f64 v[84:85], v[84:85], -v[86:87]
	v_add_f64 v[134:135], v[134:135], v[142:143]
	v_add_f64 v[136:137], v[136:137], v[144:145]
	;; [unrolled: 1-line block ×5, first 2 shown]
	v_mul_f64 v[86:87], v[84:85], s[8:9]
	v_add_f64 v[88:89], v[88:89], -v[90:91]
	v_fma_f64 v[90:91], v[92:93], s[0:1], -v[86:87]
	v_fma_f64 v[86:87], v[92:93], s[0:1], v[86:87]
	v_add_f64 v[90:91], v[90:91], v[98:99]
	v_mul_f64 v[98:99], v[88:89], s[8:9]
	v_add_f64 v[86:87], v[86:87], v[96:97]
	v_fma_f64 v[104:105], v[94:95], s[0:1], v[98:99]
	v_fma_f64 v[96:97], v[94:95], s[0:1], -v[98:99]
	v_mul_f64 v[98:99], v[84:85], s[36:37]
	v_add_f64 v[104:105], v[104:105], v[110:111]
	v_add_f64 v[96:97], v[96:97], v[108:109]
	v_fma_f64 v[106:107], v[92:93], s[28:29], -v[98:99]
	v_fma_f64 v[98:99], v[92:93], s[28:29], v[98:99]
	v_mul_f64 v[108:109], v[88:89], s[36:37]
	v_add_f64 v[106:107], v[106:107], v[114:115]
	v_add_f64 v[98:99], v[98:99], v[112:113]
	v_mul_f64 v[112:113], v[84:85], s[10:11]
	v_fma_f64 v[110:111], v[94:95], s[28:29], v[108:109]
	v_fma_f64 v[108:109], v[94:95], s[28:29], -v[108:109]
	v_fma_f64 v[114:115], v[92:93], s[16:17], -v[112:113]
	v_fma_f64 v[112:113], v[92:93], s[16:17], v[112:113]
	v_add_f64 v[108:109], v[108:109], v[116:117]
	v_mul_f64 v[116:117], v[88:89], s[10:11]
	v_add_f64 v[110:111], v[110:111], v[118:119]
	v_add_f64 v[114:115], v[114:115], v[122:123]
	v_add_f64 v[112:113], v[112:113], v[120:121]
	v_mul_f64 v[120:121], v[84:85], s[24:25]
	v_fma_f64 v[118:119], v[94:95], s[16:17], v[116:117]
	v_fma_f64 v[116:117], v[94:95], s[16:17], -v[116:117]
	v_mul_f64 v[84:85], v[84:85], s[20:21]
	v_fma_f64 v[122:123], v[92:93], s[18:19], -v[120:121]
	v_fma_f64 v[120:121], v[92:93], s[18:19], v[120:121]
	v_add_f64 v[116:117], v[116:117], v[126:127]
	v_mul_f64 v[126:127], v[88:89], s[24:25]
	v_mul_f64 v[88:89], v[88:89], s[20:21]
	v_add_f64 v[118:119], v[118:119], v[128:129]
	v_add_f64 v[122:123], v[122:123], v[132:133]
	;; [unrolled: 1-line block ×3, first 2 shown]
	v_fma_f64 v[130:131], v[92:93], s[22:23], -v[84:85]
	v_fma_f64 v[84:85], v[92:93], s[22:23], v[84:85]
	v_add_f64 v[92:93], v[76:77], v[78:79]
	v_add_f64 v[76:77], v[76:77], -v[78:79]
	v_fma_f64 v[128:129], v[94:95], s[18:19], v[126:127]
	v_fma_f64 v[126:127], v[94:95], s[18:19], -v[126:127]
	v_fma_f64 v[132:133], v[94:95], s[22:23], v[88:89]
	v_add_f64 v[130:131], v[130:131], v[138:139]
	v_add_f64 v[64:65], v[84:85], v[64:65]
	v_fma_f64 v[84:85], v[94:95], s[22:23], -v[88:89]
	v_mul_f64 v[78:79], v[76:77], s[20:21]
	v_add_f64 v[128:129], v[128:129], v[136:137]
	v_add_f64 v[126:127], v[126:127], v[134:135]
	;; [unrolled: 1-line block ×5, first 2 shown]
	v_add_f64 v[80:81], v[80:81], -v[82:83]
	v_fma_f64 v[82:83], v[84:85], s[22:23], -v[78:79]
	v_fma_f64 v[78:79], v[84:85], s[22:23], v[78:79]
	v_add_f64 v[94:95], v[82:83], v[90:91]
	v_mul_f64 v[82:83], v[80:81], s[20:21]
	v_add_f64 v[78:79], v[78:79], v[86:87]
	v_fma_f64 v[88:89], v[92:93], s[22:23], v[82:83]
	v_fma_f64 v[82:83], v[92:93], s[22:23], -v[82:83]
	v_add_f64 v[104:105], v[88:89], v[104:105]
	v_add_f64 v[96:97], v[82:83], v[96:97]
	v_mul_f64 v[82:83], v[76:77], s[34:35]
	v_fma_f64 v[86:87], v[84:85], s[0:1], -v[82:83]
	v_fma_f64 v[82:83], v[84:85], s[0:1], v[82:83]
	v_add_f64 v[134:135], v[86:87], v[106:107]
	v_mul_f64 v[86:87], v[80:81], s[34:35]
	v_add_f64 v[98:99], v[82:83], v[98:99]
	v_fma_f64 v[82:83], v[92:93], s[0:1], -v[86:87]
	v_fma_f64 v[88:89], v[92:93], s[0:1], v[86:87]
	v_add_f64 v[136:137], v[82:83], v[108:109]
	v_mul_f64 v[82:83], v[76:77], s[24:25]
	v_add_f64 v[110:111], v[88:89], v[110:111]
	;; [unrolled: 5-line block ×3, first 2 shown]
	v_fma_f64 v[82:83], v[92:93], s[18:19], -v[86:87]
	v_fma_f64 v[88:89], v[92:93], s[18:19], v[86:87]
	v_add_f64 v[116:117], v[82:83], v[116:117]
	v_mul_f64 v[82:83], v[76:77], s[26:27]
	v_mul_f64 v[76:77], v[76:77], s[10:11]
	v_add_f64 v[118:119], v[88:89], v[118:119]
	v_fma_f64 v[86:87], v[84:85], s[28:29], -v[82:83]
	v_fma_f64 v[82:83], v[84:85], s[28:29], v[82:83]
	v_add_f64 v[122:123], v[86:87], v[122:123]
	v_mul_f64 v[86:87], v[80:81], s[26:27]
	v_add_f64 v[120:121], v[82:83], v[120:121]
	v_mul_f64 v[80:81], v[80:81], s[10:11]
	v_fma_f64 v[82:83], v[92:93], s[28:29], -v[86:87]
	v_fma_f64 v[88:89], v[92:93], s[28:29], v[86:87]
	v_add_f64 v[86:87], v[72:73], v[74:75]
	v_add_f64 v[126:127], v[82:83], v[126:127]
	v_fma_f64 v[82:83], v[84:85], s[16:17], -v[76:77]
	v_fma_f64 v[76:77], v[84:85], s[16:17], v[76:77]
	v_add_f64 v[128:129], v[88:89], v[128:129]
	v_add_f64 v[88:89], v[82:83], v[130:131]
	v_fma_f64 v[82:83], v[92:93], s[16:17], v[80:81]
	v_add_f64 v[84:85], v[76:77], v[64:65]
	v_fma_f64 v[64:65], v[92:93], s[16:17], -v[80:81]
	v_add_f64 v[92:93], v[72:73], -v[74:75]
	v_add_f64 v[130:131], v[68:69], -v[70:71]
	v_add_f64 v[90:91], v[82:83], v[132:133]
	v_add_f64 v[82:83], v[68:69], v[70:71]
	;; [unrolled: 1-line block ×3, first 2 shown]
	v_mul_f64 v[70:71], v[92:93], s[26:27]
	v_mul_f64 v[68:69], v[130:131], s[26:27]
	v_mul_f64 v[72:73], v[130:131], s[30:31]
	v_mul_f64 v[74:75], v[92:93], s[30:31]
	v_mul_f64 v[76:77], v[130:131], s[20:21]
	v_fma_f64 v[66:67], v[82:83], s[28:29], v[70:71]
	v_fma_f64 v[64:65], v[86:87], s[28:29], -v[68:69]
	v_fma_f64 v[68:69], v[86:87], s[28:29], v[68:69]
	v_add_f64 v[66:67], v[66:67], v[104:105]
	v_add_f64 v[64:65], v[64:65], v[94:95]
	;; [unrolled: 1-line block ×3, first 2 shown]
	v_fma_f64 v[68:69], v[82:83], s[28:29], -v[70:71]
	v_fma_f64 v[70:71], v[82:83], s[18:19], v[74:75]
	v_mul_f64 v[78:79], v[92:93], s[20:21]
	v_mul_f64 v[94:95], v[130:131], s[10:11]
	v_add_f64 v[106:107], v[68:69], v[96:97]
	v_fma_f64 v[68:69], v[86:87], s[18:19], -v[72:73]
	v_fma_f64 v[72:73], v[86:87], s[18:19], v[72:73]
	v_add_f64 v[70:71], v[70:71], v[110:111]
	v_mul_f64 v[96:97], v[92:93], s[10:11]
	v_mul_f64 v[92:93], v[92:93], s[8:9]
	v_add_f64 v[68:69], v[68:69], v[134:135]
	v_add_f64 v[108:109], v[72:73], v[98:99]
	v_fma_f64 v[72:73], v[82:83], s[18:19], -v[74:75]
	v_fma_f64 v[74:75], v[82:83], s[22:23], v[78:79]
	v_add_f64 v[110:111], v[72:73], v[136:137]
	v_fma_f64 v[72:73], v[86:87], s[22:23], -v[76:77]
	v_fma_f64 v[76:77], v[86:87], s[22:23], v[76:77]
	v_add_f64 v[74:75], v[74:75], v[118:119]
	v_add_f64 v[72:73], v[72:73], v[114:115]
	;; [unrolled: 1-line block ×3, first 2 shown]
	v_fma_f64 v[76:77], v[82:83], s[22:23], -v[78:79]
	v_fma_f64 v[78:79], v[82:83], s[16:17], v[96:97]
	v_add_f64 v[114:115], v[76:77], v[116:117]
	v_fma_f64 v[76:77], v[86:87], s[16:17], -v[94:95]
	v_fma_f64 v[94:95], v[86:87], s[16:17], v[94:95]
	v_add_f64 v[78:79], v[78:79], v[128:129]
	v_add_f64 v[76:77], v[76:77], v[122:123]
	;; [unrolled: 1-line block ×3, first 2 shown]
	v_fma_f64 v[94:95], v[82:83], s[16:17], -v[96:97]
	v_add_f64 v[118:119], v[94:95], v[126:127]
	v_mul_f64 v[94:95], v[130:131], s[8:9]
	v_fma_f64 v[96:97], v[86:87], s[0:1], -v[94:95]
	v_fma_f64 v[86:87], v[86:87], s[0:1], v[94:95]
	v_add_f64 v[88:89], v[96:97], v[88:89]
	v_fma_f64 v[96:97], v[82:83], s[0:1], v[92:93]
	v_fma_f64 v[82:83], v[82:83], s[0:1], -v[92:93]
	v_add_f64 v[120:121], v[86:87], v[84:85]
	v_cmp_gt_u16_e64 s0, 0x55, v152
	v_add_f64 v[90:91], v[96:97], v[90:91]
	v_add_f64 v[122:123], v[82:83], v[80:81]
	ds_write_b128 v251, v[60:63]
	ds_write_b128 v251, v[64:67] offset:272
	ds_write_b128 v251, v[68:71] offset:544
	;; [unrolled: 1-line block ×10, first 2 shown]
	s_waitcnt lgkmcnt(0)
	s_barrier
	buffer_gl0_inv
	ds_read_b128 v[124:127], v249
	ds_read_b128 v[136:139], v249 offset:2992
	ds_read_b128 v[128:131], v249 offset:5984
	;; [unrolled: 1-line block ×5, first 2 shown]
	s_and_saveexec_b32 s1, s0
	s_cbranch_execz .LBB0_9
; %bb.8:
	ds_read_b128 v[120:123], v249 offset:1632
	ds_read_b128 v[116:119], v249 offset:4624
	;; [unrolled: 1-line block ×6, first 2 shown]
.LBB0_9:
	s_or_b32 exec_lo, exec_lo, s1
	v_add_nc_u32_e32 v0, 0x66, v152
	v_add_nc_u32_e32 v1, 0xffffffab, v152
	v_mad_u64_u32 v[60:61], null, 0x50, v152, s[2:3]
	s_mov_b32 s9, 0xbfebb67a
	v_cndmask_b32_e64 v0, v1, v0, s0
	v_add_co_u32 v64, s1, 0xaa0, v60
	v_mul_i32_i24_e32 v1, 0x50, v0
	v_add_co_ci_u32_e64 v65, s1, 0, v61, s1
	v_add_co_u32 v66, s1, 0x800, v60
	v_mul_hi_i32_i24_e32 v0, 0x50, v0
	v_add_co_ci_u32_e64 v67, s1, 0, v61, s1
	v_add_co_u32 v1, s1, s2, v1
	v_add_co_ci_u32_e64 v0, s1, s3, v0, s1
	s_clause 0x1
	global_load_dwordx4 v[80:83], v[64:65], off offset:32
	global_load_dwordx4 v[84:87], v[66:67], off offset:736
	v_add_co_u32 v148, s1, 0xaa0, v1
	v_add_co_ci_u32_e64 v149, s1, 0, v0, s1
	v_add_co_u32 v68, s1, 0x800, v1
	v_add_co_ci_u32_e64 v69, s1, 0, v0, s1
	s_clause 0x7
	global_load_dwordx4 v[60:63], v[148:149], off offset:32
	global_load_dwordx4 v[76:79], v[68:69], off offset:736
	;; [unrolled: 1-line block ×8, first 2 shown]
	buffer_load_dword v0, off, s[60:63], 0 offset:24 ; 4-byte Folded Reload
	s_mov_b32 s2, 0xe8584caa
	s_mov_b32 s3, 0x3febb67a
	;; [unrolled: 1-line block ×3, first 2 shown]
	s_waitcnt vmcnt(10) lgkmcnt(2)
	v_mul_f64 v[148:149], v[142:143], v[82:83]
	v_mul_f64 v[150:151], v[140:141], v[82:83]
	s_waitcnt vmcnt(9) lgkmcnt(0)
	v_mul_f64 v[153:154], v[144:145], v[86:87]
	v_mul_f64 v[155:156], v[146:147], v[86:87]
	s_waitcnt vmcnt(8)
	v_mul_f64 v[157:158], v[110:111], v[62:63]
	v_mul_f64 v[159:160], v[108:109], v[62:63]
	s_waitcnt vmcnt(7)
	;; [unrolled: 3-line block ×5, first 2 shown]
	v_lshl_add_u32 v250, v152, 4, v0
	v_fma_f64 v[140:141], v[140:141], v[80:81], -v[148:149]
	v_fma_f64 v[142:143], v[142:143], v[80:81], v[150:151]
	v_fma_f64 v[146:147], v[146:147], v[84:85], v[153:154]
	v_fma_f64 v[144:145], v[144:145], v[84:85], -v[155:156]
	v_mul_f64 v[148:149], v[118:119], v[74:75]
	v_mul_f64 v[150:151], v[116:117], v[74:75]
	v_fma_f64 v[108:109], v[108:109], v[60:61], -v[157:158]
	v_fma_f64 v[110:111], v[110:111], v[60:61], v[159:160]
	v_fma_f64 v[102:103], v[102:103], v[76:77], v[161:162]
	v_fma_f64 v[100:101], v[100:101], v[76:77], -v[163:164]
	v_mul_f64 v[153:154], v[130:131], v[98:99]
	v_mul_f64 v[155:156], v[128:129], v[98:99]
	;; [unrolled: 1-line block ×4, first 2 shown]
	v_fma_f64 v[136:137], v[136:137], v[88:89], -v[165:166]
	v_fma_f64 v[138:139], v[138:139], v[88:89], v[167:168]
	v_mul_f64 v[165:166], v[114:115], v[70:71]
	v_mul_f64 v[167:168], v[112:113], v[70:71]
	v_fma_f64 v[104:105], v[104:105], v[64:65], -v[169:170]
	v_fma_f64 v[106:107], v[106:107], v[64:65], v[171:172]
	v_add_f64 v[161:162], v[142:143], v[146:147]
	v_add_f64 v[163:164], v[140:141], v[144:145]
	v_fma_f64 v[116:117], v[116:117], v[72:73], -v[148:149]
	v_fma_f64 v[118:119], v[118:119], v[72:73], v[150:151]
	v_add_f64 v[148:149], v[110:111], v[102:103]
	v_add_f64 v[150:151], v[108:109], v[100:101]
	v_fma_f64 v[128:129], v[128:129], v[96:97], -v[153:154]
	v_fma_f64 v[130:131], v[130:131], v[96:97], v[155:156]
	v_fma_f64 v[132:133], v[132:133], v[92:93], -v[157:158]
	v_fma_f64 v[134:135], v[134:135], v[92:93], v[159:160]
	v_add_f64 v[153:154], v[142:143], -v[146:147]
	v_add_f64 v[155:156], v[140:141], -v[144:145]
	v_fma_f64 v[112:113], v[112:113], v[68:69], -v[165:166]
	v_fma_f64 v[114:115], v[114:115], v[68:69], v[167:168]
	v_fma_f64 v[157:158], v[161:162], -0.5, v[138:139]
	v_fma_f64 v[159:160], v[163:164], -0.5, v[136:137]
	v_add_f64 v[161:162], v[110:111], -v[102:103]
	v_add_f64 v[163:164], v[108:109], -v[100:101]
	v_add_f64 v[136:137], v[136:137], v[140:141]
	v_add_f64 v[138:139], v[138:139], v[142:143]
	v_fma_f64 v[148:149], v[148:149], -0.5, v[118:119]
	v_fma_f64 v[150:151], v[150:151], -0.5, v[116:117]
	v_add_f64 v[167:168], v[124:125], v[128:129]
	v_add_f64 v[108:109], v[116:117], v[108:109]
	;; [unrolled: 1-line block ×4, first 2 shown]
	v_add_f64 v[171:172], v[130:131], -v[134:135]
	v_add_f64 v[130:131], v[126:127], v[130:131]
	v_add_f64 v[128:129], v[128:129], -v[132:133]
	v_add_f64 v[140:141], v[120:121], v[112:113]
	v_add_f64 v[142:143], v[122:123], v[114:115]
	;; [unrolled: 1-line block ×3, first 2 shown]
	v_fma_f64 v[173:174], v[155:156], s[8:9], v[157:158]
	v_fma_f64 v[175:176], v[153:154], s[8:9], v[159:160]
	;; [unrolled: 1-line block ×4, first 2 shown]
	v_add_f64 v[157:158], v[112:113], v[104:105]
	v_add_f64 v[159:160], v[114:115], v[106:107]
	v_fma_f64 v[177:178], v[163:164], s[8:9], v[148:149]
	v_fma_f64 v[179:180], v[161:162], s[8:9], v[150:151]
	v_fma_f64 v[150:151], v[161:162], s[2:3], v[150:151]
	v_fma_f64 v[148:149], v[163:164], s[2:3], v[148:149]
	v_fma_f64 v[116:117], v[165:166], -0.5, v[124:125]
	v_add_f64 v[114:115], v[114:115], -v[106:107]
	v_fma_f64 v[118:119], v[169:170], -0.5, v[126:127]
	v_add_f64 v[112:113], v[112:113], -v[104:105]
	v_add_f64 v[130:131], v[130:131], v[134:135]
	v_add_f64 v[132:133], v[167:168], v[132:133]
	;; [unrolled: 1-line block ×8, first 2 shown]
	v_mul_f64 v[124:125], v[173:174], s[2:3]
	v_mul_f64 v[126:127], v[175:176], -0.5
	v_mul_f64 v[161:162], v[153:154], s[8:9]
	v_mul_f64 v[163:164], v[155:156], -0.5
	v_fma_f64 v[120:121], v[157:158], -0.5, v[120:121]
	v_fma_f64 v[122:123], v[159:160], -0.5, v[122:123]
	v_mul_f64 v[134:135], v[177:178], s[2:3]
	v_mul_f64 v[157:158], v[179:180], -0.5
	v_mul_f64 v[159:160], v[150:151], s[8:9]
	v_mul_f64 v[165:166], v[148:149], -0.5
	v_fma_f64 v[108:109], v[171:172], s[2:3], v[116:117]
	v_fma_f64 v[110:111], v[171:172], s[8:9], v[116:117]
	;; [unrolled: 1-line block ×4, first 2 shown]
	v_add_f64 v[104:105], v[132:133], v[136:137]
	v_add_f64 v[106:107], v[130:131], v[138:139]
	v_add_f64 v[136:137], v[132:133], -v[136:137]
	v_add_f64 v[138:139], v[130:131], -v[138:139]
	;; [unrolled: 1-line block ×4, first 2 shown]
	v_fma_f64 v[153:154], v[153:154], 0.5, v[124:125]
	v_fma_f64 v[155:156], v[155:156], s[2:3], v[126:127]
	v_fma_f64 v[161:162], v[173:174], 0.5, v[161:162]
	v_fma_f64 v[163:164], v[175:176], s[8:9], v[163:164]
	v_fma_f64 v[169:170], v[114:115], s[2:3], v[120:121]
	;; [unrolled: 1-line block ×5, first 2 shown]
	v_fma_f64 v[112:113], v[150:151], 0.5, v[134:135]
	v_fma_f64 v[157:158], v[148:149], s[2:3], v[157:158]
	v_fma_f64 v[159:160], v[177:178], 0.5, v[159:160]
	v_fma_f64 v[165:166], v[179:180], s[8:9], v[165:166]
	v_add_f64 v[124:125], v[140:141], v[100:101]
	v_add_f64 v[126:127], v[142:143], v[102:103]
	;; [unrolled: 1-line block ×6, first 2 shown]
	v_add_f64 v[140:141], v[108:109], -v[153:154]
	v_add_f64 v[132:133], v[110:111], -v[155:156]
	;; [unrolled: 1-line block ×4, first 2 shown]
	v_add_f64 v[128:129], v[169:170], v[112:113]
	v_add_f64 v[120:121], v[114:115], v[157:158]
	;; [unrolled: 1-line block ×4, first 2 shown]
	v_add_f64 v[112:113], v[169:170], -v[112:113]
	v_add_f64 v[108:109], v[114:115], -v[157:158]
	;; [unrolled: 1-line block ×4, first 2 shown]
	ds_write_b128 v250, v[104:107]
	ds_write_b128 v250, v[148:151] offset:2992
	ds_write_b128 v250, v[144:147] offset:5984
	;; [unrolled: 1-line block ×5, first 2 shown]
	s_mov_b32 s1, exec_lo
	s_clause 0x3
	buffer_load_dword v20, off, s[60:63], 0 offset:28
	buffer_load_dword v21, off, s[60:63], 0 offset:32
	;; [unrolled: 1-line block ×4, first 2 shown]
	s_and_b32 s2, s1, s0
	s_mov_b32 exec_lo, s2
	s_cbranch_execz .LBB0_11
; %bb.10:
	ds_write_b128 v250, v[124:127] offset:1632
	ds_write_b128 v250, v[128:131] offset:4624
	;; [unrolled: 1-line block ×6, first 2 shown]
.LBB0_11:
	s_or_b32 exec_lo, exec_lo, s1
	s_waitcnt vmcnt(0) lgkmcnt(0)
	s_barrier
	buffer_gl0_inv
	s_and_saveexec_b32 s2, vcc_lo
	s_cbranch_execz .LBB0_13
; %bb.12:
	v_add_co_u32 v101, s1, s12, v255
	v_add_co_ci_u32_e64 v100, null, s13, 0, s1
	ds_read_b128 v[153:156], v250
	v_add_co_u32 v102, s1, 0x4620, v101
	v_add_co_ci_u32_e64 v103, s1, 0, v100, s1
	v_add_co_u32 v157, s1, 0x4000, v101
	v_add_co_ci_u32_e64 v158, s1, 0, v100, s1
	global_load_dwordx4 v[157:160], v[157:158], off offset:1568
	s_waitcnt vmcnt(0) lgkmcnt(0)
	v_mul_f64 v[161:162], v[155:156], v[159:160]
	v_fma_f64 v[161:162], v[153:154], v[157:158], -v[161:162]
	v_mul_f64 v[153:154], v[153:154], v[159:160]
	v_fma_f64 v[163:164], v[155:156], v[157:158], v[153:154]
	global_load_dwordx4 v[157:160], v[102:103], off offset:1056
	ds_read_b128 v[153:156], v250 offset:1056
	ds_write_b128 v250, v[161:164]
	s_waitcnt vmcnt(0) lgkmcnt(1)
	v_mul_f64 v[102:103], v[155:156], v[159:160]
	v_fma_f64 v[161:162], v[153:154], v[157:158], -v[102:103]
	v_mul_f64 v[102:103], v[153:154], v[159:160]
	v_fma_f64 v[163:164], v[155:156], v[157:158], v[102:103]
	v_add_co_u32 v102, s1, 0x4800, v101
	v_add_co_ci_u32_e64 v103, s1, 0, v100, s1
	ds_read_b128 v[153:156], v250 offset:2112
	global_load_dwordx4 v[157:160], v[102:103], off offset:1632
	ds_write_b128 v250, v[161:164] offset:1056
	s_waitcnt vmcnt(0) lgkmcnt(1)
	v_mul_f64 v[102:103], v[155:156], v[159:160]
	v_fma_f64 v[161:162], v[153:154], v[157:158], -v[102:103]
	v_mul_f64 v[102:103], v[153:154], v[159:160]
	v_fma_f64 v[163:164], v[155:156], v[157:158], v[102:103]
	v_add_co_u32 v102, s1, 0x5000, v101
	v_add_co_ci_u32_e64 v103, s1, 0, v100, s1
	ds_read_b128 v[153:156], v250 offset:3168
	global_load_dwordx4 v[157:160], v[102:103], off offset:640
	ds_write_b128 v250, v[161:164] offset:2112
	s_waitcnt vmcnt(0) lgkmcnt(1)
	v_mul_f64 v[161:162], v[155:156], v[159:160]
	v_fma_f64 v[161:162], v[153:154], v[157:158], -v[161:162]
	v_mul_f64 v[153:154], v[153:154], v[159:160]
	v_fma_f64 v[163:164], v[155:156], v[157:158], v[153:154]
	global_load_dwordx4 v[157:160], v[102:103], off offset:1696
	ds_read_b128 v[153:156], v250 offset:4224
	ds_write_b128 v250, v[161:164] offset:3168
	s_waitcnt vmcnt(0) lgkmcnt(1)
	v_mul_f64 v[102:103], v[155:156], v[159:160]
	v_fma_f64 v[161:162], v[153:154], v[157:158], -v[102:103]
	v_mul_f64 v[102:103], v[153:154], v[159:160]
	v_fma_f64 v[163:164], v[155:156], v[157:158], v[102:103]
	v_add_co_u32 v102, s1, 0x5800, v101
	v_add_co_ci_u32_e64 v103, s1, 0, v100, s1
	ds_read_b128 v[153:156], v250 offset:5280
	global_load_dwordx4 v[157:160], v[102:103], off offset:704
	ds_write_b128 v250, v[161:164] offset:4224
	s_waitcnt vmcnt(0) lgkmcnt(1)
	v_mul_f64 v[161:162], v[155:156], v[159:160]
	v_fma_f64 v[161:162], v[153:154], v[157:158], -v[161:162]
	v_mul_f64 v[153:154], v[153:154], v[159:160]
	v_fma_f64 v[163:164], v[155:156], v[157:158], v[153:154]
	global_load_dwordx4 v[157:160], v[102:103], off offset:1760
	ds_read_b128 v[153:156], v250 offset:6336
	;; [unrolled: 18-line block ×6, first 2 shown]
	ds_write_b128 v250, v[161:164] offset:13728
	s_waitcnt vmcnt(0) lgkmcnt(1)
	v_mul_f64 v[102:103], v[155:156], v[159:160]
	v_fma_f64 v[161:162], v[153:154], v[157:158], -v[102:103]
	v_mul_f64 v[102:103], v[153:154], v[159:160]
	v_fma_f64 v[163:164], v[155:156], v[157:158], v[102:103]
	v_add_co_u32 v102, s1, 0x8000, v101
	v_add_co_ci_u32_e64 v103, s1, 0, v100, s1
	ds_read_b128 v[153:156], v250 offset:15840
	v_add_co_u32 v101, s1, 0x8800, v101
	global_load_dwordx4 v[157:160], v[102:103], off offset:1024
	ds_write_b128 v250, v[161:164] offset:14784
	s_waitcnt vmcnt(0) lgkmcnt(1)
	v_mul_f64 v[102:103], v[155:156], v[159:160]
	v_fma_f64 v[161:162], v[153:154], v[157:158], -v[102:103]
	v_mul_f64 v[102:103], v[153:154], v[159:160]
	v_fma_f64 v[163:164], v[155:156], v[157:158], v[102:103]
	v_add_co_ci_u32_e64 v102, s1, 0, v100, s1
	ds_read_b128 v[153:156], v250 offset:16896
	global_load_dwordx4 v[100:103], v[101:102], off offset:32
	ds_write_b128 v250, v[161:164] offset:15840
	s_waitcnt vmcnt(0) lgkmcnt(1)
	v_mul_f64 v[157:158], v[155:156], v[102:103]
	v_mul_f64 v[102:103], v[153:154], v[102:103]
	v_fma_f64 v[157:158], v[153:154], v[100:101], -v[157:158]
	v_fma_f64 v[159:160], v[155:156], v[100:101], v[102:103]
	ds_write_b128 v250, v[157:160] offset:16896
.LBB0_13:
	s_or_b32 exec_lo, exec_lo, s2
	s_waitcnt lgkmcnt(0)
	s_barrier
	buffer_gl0_inv
	s_and_saveexec_b32 s1, vcc_lo
	s_cbranch_execz .LBB0_15
; %bb.14:
	ds_read_b128 v[104:107], v250
	ds_read_b128 v[148:151], v250 offset:1056
	ds_read_b128 v[144:147], v250 offset:2112
	;; [unrolled: 1-line block ×16, first 2 shown]
.LBB0_15:
	s_or_b32 exec_lo, exec_lo, s1
	s_waitcnt lgkmcnt(0)
	v_add_f64 v[235:236], v[150:151], -v[4:5]
	v_add_f64 v[239:240], v[150:151], v[4:5]
	s_mov_b32 s8, 0x6c9a05f6
	s_mov_b32 s2, 0x6ed5f1bb
	;; [unrolled: 1-line block ×4, first 2 shown]
	v_add_f64 v[233:234], v[148:149], v[2:3]
	v_add_f64 v[48:49], v[146:147], -v[22:23]
	v_add_f64 v[243:244], v[148:149], -v[2:3]
	v_add_f64 v[157:158], v[146:147], v[22:23]
	s_mov_b32 s20, 0x923c349f
	s_mov_b32 s18, 0xc61f0d01
	;; [unrolled: 1-line block ×4, first 2 shown]
	v_add_f64 v[153:154], v[144:145], v[20:21]
	v_add_f64 v[159:160], v[138:139], -v[10:11]
	v_add_f64 v[165:166], v[144:145], -v[20:21]
	v_add_f64 v[163:164], v[138:139], v[10:11]
	s_mov_b32 s30, 0x5d8e7cdc
	s_mov_b32 s10, 0x370991
	;; [unrolled: 1-line block ×4, first 2 shown]
	v_mul_f64 v[245:246], v[235:236], s[8:9]
	v_mul_f64 v[247:248], v[239:240], s[2:3]
	v_add_f64 v[161:162], v[136:137], v[8:9]
	v_add_f64 v[169:170], v[142:143], -v[14:15]
	v_add_f64 v[177:178], v[136:137], -v[8:9]
	v_add_f64 v[173:174], v[142:143], v[14:15]
	s_mov_b32 s22, 0x4363dd80
	v_mul_f64 v[205:206], v[48:49], s[20:21]
	s_mov_b32 s16, 0x910ea3b9
	v_mul_f64 v[6:7], v[157:158], s[18:19]
	s_mov_b32 s23, 0xbfe0d888
	s_mov_b32 s17, 0xbfeb34fa
	v_add_f64 v[167:168], v[140:141], v[12:13]
	v_add_f64 v[183:184], v[140:141], -v[12:13]
	v_add_f64 v[191:192], v[134:135], -v[18:19]
	v_mul_f64 v[28:29], v[159:160], s[30:31]
	s_mov_b32 s42, 0xeb564b22
	v_mul_f64 v[155:156], v[163:164], s[10:11]
	s_mov_b32 s43, 0x3fefdd0d
	v_add_f64 v[181:182], v[132:133], v[16:17]
	v_add_f64 v[185:186], v[134:135], v[18:19]
	s_mov_b32 s26, 0x3259b75e
	v_fma_f64 v[100:101], v[233:234], s[2:3], -v[245:246]
	v_fma_f64 v[102:103], v[243:244], s[8:9], v[247:248]
	s_mov_b32 s27, 0x3fb79ee6
	v_mul_f64 v[58:59], v[169:170], s[22:23]
	v_add_f64 v[195:196], v[132:133], -v[16:17]
	v_mul_f64 v[36:37], v[173:174], s[16:17]
	v_add_f64 v[197:198], v[126:127], -v[110:111]
	v_fma_f64 v[171:172], v[153:154], s[18:19], -v[205:206]
	s_mov_b32 s40, 0x2a9d6da3
	v_fma_f64 v[175:176], v[165:166], s[20:21], v[6:7]
	s_mov_b32 s41, 0xbfe58eea
	v_add_f64 v[189:190], v[126:127], v[110:111]
	s_mov_b32 s24, 0x75d4884
	s_mov_b32 s25, 0x3fe7a5f6
	v_mul_f64 v[34:35], v[191:192], s[42:43]
	v_fma_f64 v[179:180], v[161:162], s[10:11], -v[28:29]
	v_add_f64 v[203:204], v[124:125], -v[108:109]
	v_add_f64 v[199:200], v[130:131], -v[114:115]
	s_mov_b32 s34, 0xacd6c6b4
	s_mov_b32 s35, 0xbfc7851a
	v_mul_f64 v[38:39], v[185:186], s[26:27]
	v_add_f64 v[193:194], v[130:131], v[114:115]
	v_add_f64 v[100:101], v[104:105], v[100:101]
	;; [unrolled: 1-line block ×3, first 2 shown]
	s_mov_b32 s28, 0x7faef3
	s_mov_b32 s29, 0xbfef7484
	v_add_f64 v[50:51], v[128:129], -v[112:113]
	v_add_f64 v[44:45], v[122:123], -v[118:119]
	v_mul_f64 v[42:43], v[197:198], s[40:41]
	s_mov_b32 s38, 0x7c9e640b
	s_mov_b32 s39, 0x3feca52d
	;; [unrolled: 1-line block ×4, first 2 shown]
	v_mul_f64 v[40:41], v[189:190], s[24:25]
	v_add_f64 v[207:208], v[120:121], -v[116:117]
	s_barrier
	buffer_gl0_inv
	v_mul_f64 v[46:47], v[199:200], s[34:35]
	v_mul_f64 v[52:53], v[193:194], s[28:29]
	v_add_f64 v[100:101], v[171:172], v[100:101]
	v_add_f64 v[102:103], v[175:176], v[102:103]
	v_fma_f64 v[171:172], v[177:178], s[30:31], v[155:156]
	v_fma_f64 v[175:176], v[167:168], s[16:17], -v[58:59]
	v_mul_f64 v[54:55], v[44:45], s[38:39]
	v_add_f64 v[100:101], v[179:180], v[100:101]
	v_add_f64 v[179:180], v[124:125], v[108:109]
	;; [unrolled: 1-line block ×3, first 2 shown]
	v_fma_f64 v[171:172], v[183:184], s[22:23], v[36:37]
	v_add_f64 v[100:101], v[175:176], v[100:101]
	v_add_f64 v[175:176], v[128:129], v[112:113]
	;; [unrolled: 1-line block ×3, first 2 shown]
	v_fma_f64 v[171:172], v[181:182], s[26:27], -v[34:35]
	v_add_f64 v[100:101], v[171:172], v[100:101]
	v_fma_f64 v[171:172], v[195:196], s[42:43], v[38:39]
	v_add_f64 v[102:103], v[171:172], v[102:103]
	v_fma_f64 v[171:172], v[179:180], s[24:25], -v[42:43]
	v_add_f64 v[100:101], v[171:172], v[100:101]
	v_fma_f64 v[171:172], v[203:204], s[40:41], v[40:41]
	v_add_f64 v[102:103], v[171:172], v[102:103]
	;; [unrolled: 4-line block ×3, first 2 shown]
	v_add_f64 v[171:172], v[120:121], v[116:117]
	v_fma_f64 v[187:188], v[171:172], s[36:37], -v[54:55]
	v_add_f64 v[100:101], v[187:188], v[100:101]
	v_add_f64 v[187:188], v[122:123], v[118:119]
	v_mul_f64 v[56:57], v[187:188], s[36:37]
	v_fma_f64 v[252:253], v[207:208], s[38:39], v[56:57]
	v_add_f64 v[102:103], v[252:253], v[102:103]
	s_and_saveexec_b32 s1, vcc_lo
	s_cbranch_execz .LBB0_17
; %bb.16:
	v_add_f64 v[150:151], v[106:107], v[150:151]
	v_add_f64 v[148:149], v[104:105], v[148:149]
	s_mov_b32 s49, 0xbfeec746
	s_mov_b32 s48, s20
	;; [unrolled: 1-line block ×6, first 2 shown]
	buffer_store_dword v76, off, s[60:63], 0 ; 4-byte Folded Spill
	buffer_store_dword v77, off, s[60:63], 0 offset:4 ; 4-byte Folded Spill
	buffer_store_dword v78, off, s[60:63], 0 offset:8 ; 4-byte Folded Spill
	;; [unrolled: 1-line block ×15, first 2 shown]
	v_mov_b32_e32 v69, v27
	v_mov_b32_e32 v68, v26
	;; [unrolled: 1-line block ×5, first 2 shown]
	v_mul_f64 v[252:253], v[235:236], s[48:49]
	v_mov_b32_e32 v26, v4
	v_mov_b32_e32 v25, v3
	;; [unrolled: 1-line block ×5, first 2 shown]
	v_mul_f64 v[254:255], v[235:236], s[44:45]
	v_mov_b32_e32 v73, v63
	v_add_f64 v[146:147], v[150:151], v[146:147]
	v_add_f64 v[144:145], v[148:149], v[144:145]
	v_mov_b32_e32 v72, v62
	v_mov_b32_e32 v71, v61
	;; [unrolled: 1-line block ×13, first 2 shown]
	s_mov_b32 s47, 0x3fd71e95
	s_mov_b32 s46, s30
	v_mov_b32_e32 v56, v28
	v_mov_b32_e32 v28, v209
	;; [unrolled: 1-line block ×4, first 2 shown]
	buffer_store_dword v217, off, s[60:63], 0 offset:28 ; 4-byte Folded Spill
	buffer_store_dword v218, off, s[60:63], 0 offset:32 ; 4-byte Folded Spill
	;; [unrolled: 1-line block ×4, first 2 shown]
	v_add_f64 v[138:139], v[146:147], v[138:139]
	v_add_f64 v[136:137], v[144:145], v[136:137]
	v_mov_b32_e32 v52, v40
	v_mov_b32_e32 v60, v42
	;; [unrolled: 1-line block ×9, first 2 shown]
	v_fma_f64 v[217:218], v[233:234], s[18:19], -v[252:253]
	v_fma_f64 v[252:253], v[233:234], s[18:19], v[252:253]
	v_fma_f64 v[219:220], v[233:234], s[26:27], -v[254:255]
	v_fma_f64 v[254:255], v[233:234], s[26:27], v[254:255]
	v_mov_b32_e32 v41, v222
	v_mov_b32_e32 v42, v223
	;; [unrolled: 1-line block ×7, first 2 shown]
	v_add_f64 v[138:139], v[138:139], v[142:143]
	v_add_f64 v[136:137], v[136:137], v[140:141]
	s_mov_b32 s51, 0x3fe58eea
	s_mov_b32 s50, s40
	v_mul_f64 v[0:1], v[207:208], s[42:43]
	s_mov_b32 s54, s8
	s_mov_b32 s57, 0x3fe0d888
	s_mov_b32 s56, s22
	v_add_f64 v[134:135], v[138:139], v[134:135]
	v_add_f64 v[132:133], v[136:137], v[132:133]
	v_mul_f64 v[136:137], v[243:244], s[52:53]
	v_add_f64 v[126:127], v[134:135], v[126:127]
	v_add_f64 v[124:125], v[132:133], v[124:125]
	v_mul_f64 v[134:135], v[243:244], s[44:45]
	;; [unrolled: 3-line block ×3, first 2 shown]
	v_fma_f64 v[150:151], v[239:240], s[26:27], v[134:135]
	v_fma_f64 v[134:135], v[239:240], s[26:27], -v[134:135]
	v_add_f64 v[122:123], v[126:127], v[122:123]
	v_add_f64 v[120:121], v[124:125], v[120:121]
	v_mul_f64 v[126:127], v[243:244], s[30:31]
	v_mul_f64 v[124:125], v[243:244], s[40:41]
	v_fma_f64 v[146:147], v[239:240], s[18:19], v[128:129]
	v_fma_f64 v[148:149], v[239:240], s[18:19], -v[128:129]
	v_mul_f64 v[128:129], v[235:236], s[34:35]
	v_add_f64 v[150:151], v[106:107], v[150:151]
	v_add_f64 v[134:135], v[106:107], v[134:135]
	;; [unrolled: 1-line block ×4, first 2 shown]
	v_mul_f64 v[116:117], v[243:244], s[8:9]
	v_mul_f64 v[118:119], v[233:234], s[2:3]
	;; [unrolled: 1-line block ×4, first 2 shown]
	v_fma_f64 v[144:145], v[239:240], s[10:11], -v[126:127]
	v_fma_f64 v[142:143], v[239:240], s[24:25], -v[124:125]
	v_fma_f64 v[124:125], v[239:240], s[24:25], v[124:125]
	v_fma_f64 v[126:127], v[239:240], s[10:11], v[126:127]
	;; [unrolled: 1-line block ×3, first 2 shown]
	v_fma_f64 v[136:137], v[239:240], s[36:37], -v[136:137]
	v_fma_f64 v[209:210], v[233:234], s[28:29], -v[128:129]
	v_fma_f64 v[128:129], v[233:234], s[28:29], v[128:129]
	v_add_f64 v[114:115], v[130:131], v[114:115]
	v_mul_f64 v[130:131], v[165:166], s[46:47]
	v_add_f64 v[116:117], v[247:248], -v[116:117]
	v_add_f64 v[118:119], v[118:119], v[245:246]
	v_fma_f64 v[138:139], v[239:240], s[28:29], v[120:121]
	v_fma_f64 v[120:121], v[239:240], s[28:29], -v[120:121]
	v_fma_f64 v[140:141], v[239:240], s[16:17], v[122:123]
	v_fma_f64 v[122:123], v[239:240], s[16:17], -v[122:123]
	v_mul_f64 v[239:240], v[235:236], s[22:23]
	v_mul_f64 v[245:246], v[235:236], s[40:41]
	;; [unrolled: 1-line block ×4, first 2 shown]
	v_add_f64 v[2:3], v[106:107], v[144:145]
	v_add_f64 v[209:210], v[104:105], v[209:210]
	;; [unrolled: 1-line block ×8, first 2 shown]
	v_mul_f64 v[132:133], v[48:49], s[46:47]
	v_add_f64 v[142:143], v[106:107], v[142:143]
	buffer_store_dword v2, off, s[60:63], 0 offset:140 ; 4-byte Folded Spill
	buffer_store_dword v3, off, s[60:63], 0 offset:144 ; 4-byte Folded Spill
	v_fma_f64 v[211:212], v[233:234], s[16:17], -v[239:240]
	v_fma_f64 v[239:240], v[233:234], s[16:17], v[239:240]
	v_fma_f64 v[213:214], v[233:234], s[24:25], v[245:246]
	v_fma_f64 v[245:246], v[233:234], s[24:25], -v[245:246]
	v_fma_f64 v[215:216], v[233:234], s[10:11], v[247:248]
	v_fma_f64 v[247:248], v[233:234], s[10:11], -v[247:248]
	v_fma_f64 v[221:222], v[233:234], s[36:37], -v[235:236]
	v_fma_f64 v[233:234], v[233:234], s[36:37], v[235:236]
	v_add_f64 v[235:236], v[106:107], v[120:121]
	v_add_f64 v[5:6], v[106:107], v[122:123]
	v_mov_b32_e32 v120, v229
	v_add_f64 v[138:139], v[106:107], v[138:139]
	v_mov_b32_e32 v121, v230
	v_mov_b32_e32 v122, v231
	;; [unrolled: 1-line block ×3, first 2 shown]
	v_add_f64 v[229:230], v[104:105], v[118:119]
	v_add_f64 v[140:141], v[106:107], v[140:141]
	;; [unrolled: 1-line block ×17, first 2 shown]
	v_fma_f64 v[104:105], v[157:158], s[10:11], v[130:131]
	v_add_f64 v[219:220], v[106:107], v[243:244]
	v_fma_f64 v[106:107], v[153:154], s[10:11], -v[132:133]
	buffer_store_dword v2, off, s[60:63], 0 offset:148 ; 4-byte Folded Spill
	buffer_store_dword v3, off, s[60:63], 0 offset:152 ; 4-byte Folded Spill
	v_fma_f64 v[2:3], v[187:188], s[26:27], v[0:1]
	v_fma_f64 v[108:109], v[157:158], s[10:11], -v[130:131]
	v_add_f64 v[114:115], v[114:115], v[110:111]
	v_fma_f64 v[110:111], v[153:154], s[10:11], v[132:133]
	v_fma_f64 v[0:1], v[187:188], s[26:27], -v[0:1]
	v_add_f64 v[104:105], v[104:105], v[138:139]
	v_mul_f64 v[138:139], v[177:178], s[22:23]
	v_add_f64 v[106:107], v[106:107], v[209:210]
	v_add_f64 v[108:109], v[108:109], v[235:236]
	;; [unrolled: 1-line block ×3, first 2 shown]
	v_fma_f64 v[209:210], v[163:164], s[16:17], v[138:139]
	v_add_f64 v[104:105], v[209:210], v[104:105]
	v_mul_f64 v[209:210], v[159:160], s[22:23]
	v_fma_f64 v[243:244], v[161:162], s[16:17], -v[209:210]
	v_add_f64 v[106:107], v[243:244], v[106:107]
	v_mul_f64 v[243:244], v[183:184], s[50:51]
	v_fma_f64 v[245:246], v[173:174], s[24:25], v[243:244]
	v_add_f64 v[104:105], v[245:246], v[104:105]
	v_mul_f64 v[245:246], v[169:170], s[50:51]
	v_fma_f64 v[247:248], v[167:168], s[24:25], -v[245:246]
	v_add_f64 v[106:107], v[247:248], v[106:107]
	v_mul_f64 v[247:248], v[195:196], s[8:9]
	;; [unrolled: 6-line block ×4, first 2 shown]
	v_fma_f64 v[241:242], v[193:194], s[18:19], v[237:238]
	v_add_f64 v[104:105], v[241:242], v[104:105]
	v_mul_f64 v[241:242], v[199:200], s[48:49]
	v_fma_f64 v[116:117], v[175:176], s[18:19], -v[241:242]
	v_add_f64 v[116:117], v[116:117], v[106:107]
	v_add_f64 v[106:107], v[2:3], v[104:105]
	v_mul_f64 v[2:3], v[44:45], s[42:43]
	v_fma_f64 v[104:105], v[171:172], s[26:27], -v[2:3]
	v_fma_f64 v[2:3], v[171:172], s[26:27], v[2:3]
	v_add_f64 v[104:105], v[104:105], v[116:117]
	v_fma_f64 v[116:117], v[163:164], s[16:17], -v[138:139]
	v_add_f64 v[108:109], v[116:117], v[108:109]
	v_fma_f64 v[116:117], v[161:162], s[16:17], v[209:210]
	v_add_f64 v[110:111], v[116:117], v[110:111]
	v_fma_f64 v[116:117], v[173:174], s[24:25], -v[243:244]
	v_mul_f64 v[243:244], v[44:45], s[48:49]
	v_add_f64 v[108:109], v[116:117], v[108:109]
	v_fma_f64 v[116:117], v[167:168], s[24:25], v[245:246]
	v_add_f64 v[110:111], v[116:117], v[110:111]
	v_fma_f64 v[116:117], v[185:186], s[2:3], -v[247:248]
	v_add_f64 v[108:109], v[116:117], v[108:109]
	v_fma_f64 v[116:117], v[181:182], s[2:3], v[252:253]
	v_add_f64 v[110:111], v[116:117], v[110:111]
	v_fma_f64 v[116:117], v[189:190], s[36:37], -v[254:255]
	v_mov_b32_e32 v255, v152
	v_mov_b32_e32 v152, v4
	v_add_f64 v[108:109], v[116:117], v[108:109]
	v_fma_f64 v[116:117], v[179:180], s[36:37], v[231:232]
	v_add_f64 v[110:111], v[116:117], v[110:111]
	v_fma_f64 v[116:117], v[193:194], s[18:19], -v[237:238]
	v_add_f64 v[108:109], v[116:117], v[108:109]
	v_fma_f64 v[116:117], v[175:176], s[18:19], v[241:242]
	v_mul_f64 v[241:242], v[207:208], s[48:49]
	v_add_f64 v[116:117], v[116:117], v[110:111]
	v_add_f64 v[110:111], v[0:1], v[108:109]
	;; [unrolled: 1-line block ×3, first 2 shown]
	v_mul_f64 v[114:115], v[48:49], s[38:39]
	v_add_f64 v[108:109], v[2:3], v[116:117]
	v_add_f64 v[2:3], v[112:113], v[16:17]
	v_mul_f64 v[112:113], v[165:166], s[38:39]
	v_mul_f64 v[116:117], v[177:178], s[44:45]
	v_fma_f64 v[18:19], v[153:154], s[36:37], -v[114:115]
	v_add_f64 v[0:1], v[0:1], v[14:15]
	v_fma_f64 v[14:15], v[153:154], s[36:37], v[114:115]
	v_fma_f64 v[114:115], v[171:172], s[18:19], v[243:244]
	v_add_f64 v[2:3], v[2:3], v[12:13]
	v_fma_f64 v[16:17], v[157:158], s[36:37], v[112:113]
	v_fma_f64 v[130:131], v[163:164], s[26:27], v[116:117]
	v_add_f64 v[18:19], v[18:19], v[211:212]
	v_fma_f64 v[12:13], v[157:158], s[36:37], -v[112:113]
	v_fma_f64 v[112:113], v[163:164], s[26:27], -v[116:117]
	v_add_f64 v[14:15], v[14:15], v[239:240]
	v_add_f64 v[0:1], v[0:1], v[10:11]
	v_mul_f64 v[10:11], v[177:178], s[30:31]
	v_mul_f64 v[116:117], v[161:162], s[10:11]
	v_add_f64 v[2:3], v[2:3], v[8:9]
	v_add_f64 v[16:17], v[16:17], v[140:141]
	v_mul_f64 v[8:9], v[183:184], s[22:23]
	v_add_f64 v[12:13], v[12:13], v[5:6]
	v_mul_f64 v[4:5], v[165:166], s[56:57]
	v_add_f64 v[0:1], v[0:1], v[22:23]
	v_add_f64 v[10:11], v[155:156], -v[10:11]
	v_add_f64 v[116:117], v[116:117], v[56:57]
	v_mul_f64 v[155:156], v[48:49], s[40:41]
	v_add_f64 v[2:3], v[2:3], v[20:21]
	v_add_f64 v[16:17], v[130:131], v[16:17]
	v_mul_f64 v[130:131], v[159:160], s[44:45]
	v_add_f64 v[8:9], v[36:37], -v[8:9]
	v_add_f64 v[12:13], v[112:113], v[12:13]
	v_fma_f64 v[6:7], v[157:158], s[16:17], v[4:5]
	v_fma_f64 v[4:5], v[157:158], s[16:17], -v[4:5]
	s_clause 0x1
	buffer_load_dword v20, off, s[60:63], 0 offset:140
	buffer_load_dword v21, off, s[60:63], 0 offset:144
	v_fma_f64 v[132:133], v[161:162], s[26:27], -v[130:131]
	v_fma_f64 v[112:113], v[161:162], s[26:27], v[130:131]
	v_mul_f64 v[130:131], v[153:154], s[18:19]
	v_add_f64 v[6:7], v[6:7], v[144:145]
	v_add_f64 v[4:5], v[4:5], v[146:147]
	;; [unrolled: 1-line block ×3, first 2 shown]
	v_mul_f64 v[132:133], v[183:184], s[54:55]
	v_add_f64 v[14:15], v[112:113], v[14:15]
	v_add_f64 v[130:131], v[130:131], v[205:206]
	v_fma_f64 v[138:139], v[173:174], s[2:3], v[132:133]
	v_fma_f64 v[112:113], v[173:174], s[2:3], -v[132:133]
	v_mul_f64 v[132:133], v[195:196], s[42:43]
	v_add_f64 v[130:131], v[130:131], v[229:230]
	v_add_f64 v[16:17], v[138:139], v[16:17]
	v_mul_f64 v[138:139], v[169:170], s[54:55]
	v_add_f64 v[12:13], v[112:113], v[12:13]
	v_add_f64 v[132:133], v[38:39], -v[132:133]
	v_add_f64 v[116:117], v[116:117], v[130:131]
	v_fma_f64 v[140:141], v[167:168], s[2:3], -v[138:139]
	v_fma_f64 v[112:113], v[167:168], s[2:3], v[138:139]
	v_mul_f64 v[138:139], v[181:182], s[26:27]
	v_add_f64 v[18:19], v[140:141], v[18:19]
	v_mul_f64 v[140:141], v[195:196], s[30:31]
	v_add_f64 v[14:15], v[112:113], v[14:15]
	v_add_f64 v[138:139], v[138:139], v[46:47]
	v_fma_f64 v[209:210], v[185:186], s[10:11], v[140:141]
	v_fma_f64 v[112:113], v[185:186], s[10:11], -v[140:141]
	v_add_f64 v[16:17], v[209:210], v[16:17]
	v_mul_f64 v[209:210], v[191:192], s[30:31]
	v_add_f64 v[12:13], v[112:113], v[12:13]
	v_fma_f64 v[211:212], v[181:182], s[10:11], -v[209:210]
	v_fma_f64 v[112:113], v[181:182], s[10:11], v[209:210]
	v_mul_f64 v[209:210], v[169:170], s[46:47]
	v_add_f64 v[18:19], v[211:212], v[18:19]
	v_mul_f64 v[211:212], v[203:204], s[34:35]
	v_add_f64 v[14:15], v[112:113], v[14:15]
	v_fma_f64 v[223:224], v[189:190], s[28:29], v[211:212]
	v_fma_f64 v[112:113], v[189:190], s[28:29], -v[211:212]
	v_fma_f64 v[211:212], v[167:168], s[10:11], -v[209:210]
	v_add_f64 v[16:17], v[223:224], v[16:17]
	v_mul_f64 v[223:224], v[197:198], s[34:35]
	v_add_f64 v[12:13], v[112:113], v[12:13]
	v_fma_f64 v[231:232], v[179:180], s[28:29], -v[223:224]
	v_fma_f64 v[112:113], v[179:180], s[28:29], v[223:224]
	v_add_f64 v[18:19], v[231:232], v[18:19]
	v_mul_f64 v[231:232], v[50:51], s[50:51]
	v_add_f64 v[14:15], v[112:113], v[14:15]
	v_fma_f64 v[235:236], v[193:194], s[24:25], v[231:232]
	v_fma_f64 v[112:113], v[193:194], s[24:25], -v[231:232]
	v_mov_b32_e32 v232, v123
	v_mov_b32_e32 v231, v122
	;; [unrolled: 1-line block ×4, first 2 shown]
	v_add_f64 v[16:17], v[235:236], v[16:17]
	v_mul_f64 v[235:236], v[199:200], s[50:51]
	v_add_f64 v[12:13], v[112:113], v[12:13]
	v_fma_f64 v[112:113], v[175:176], s[24:25], v[235:236]
	v_fma_f64 v[237:238], v[175:176], s[24:25], -v[235:236]
	v_add_f64 v[112:113], v[112:113], v[14:15]
	v_fma_f64 v[14:15], v[187:188], s[18:19], -v[241:242]
	v_add_f64 v[237:238], v[237:238], v[18:19]
	v_fma_f64 v[18:19], v[187:188], s[18:19], v[241:242]
	v_add_f64 v[14:15], v[14:15], v[12:13]
	v_add_f64 v[12:13], v[114:115], v[112:113]
	v_mul_f64 v[112:113], v[165:166], s[20:21]
	v_mul_f64 v[114:115], v[167:168], s[16:17]
	v_add_f64 v[18:19], v[18:19], v[16:17]
	v_fma_f64 v[16:17], v[171:172], s[18:19], -v[243:244]
	v_add_f64 v[112:113], v[54:55], -v[112:113]
	v_add_f64 v[114:115], v[114:115], v[58:59]
	v_add_f64 v[16:17], v[16:17], v[237:238]
	;; [unrolled: 1-line block ×4, first 2 shown]
	v_mul_f64 v[116:117], v[50:51], s[34:35]
	v_add_f64 v[10:11], v[10:11], v[112:113]
	v_mul_f64 v[112:113], v[203:204], s[40:41]
	v_add_f64 v[116:117], v[62:63], -v[116:117]
	v_add_f64 v[114:115], v[138:139], v[114:115]
	v_add_f64 v[8:9], v[8:9], v[10:11]
	v_add_f64 v[112:113], v[52:53], -v[112:113]
	v_mul_f64 v[10:11], v[179:180], s[24:25]
	v_add_f64 v[8:9], v[132:133], v[8:9]
	v_add_f64 v[10:11], v[10:11], v[60:61]
	v_mov_b32_e32 v60, v70
	v_mov_b32_e32 v61, v71
	;; [unrolled: 1-line block ×4, first 2 shown]
	v_add_f64 v[8:9], v[112:113], v[8:9]
	v_mul_f64 v[112:113], v[175:176], s[28:29]
	v_add_f64 v[10:11], v[10:11], v[114:115]
	v_mul_f64 v[114:115], v[207:208], s[38:39]
	v_add_f64 v[8:9], v[116:117], v[8:9]
	v_add_f64 v[112:113], v[112:113], v[78:79]
	v_mul_f64 v[116:117], v[171:172], s[36:37]
	v_add_f64 v[114:115], v[64:65], -v[114:115]
	v_add_f64 v[112:113], v[112:113], v[10:11]
	v_add_f64 v[116:117], v[116:117], v[76:77]
	;; [unrolled: 1-line block ×4, first 2 shown]
	v_mul_f64 v[112:113], v[177:178], s[50:51]
	v_fma_f64 v[114:115], v[163:164], s[24:25], v[112:113]
	v_fma_f64 v[112:113], v[163:164], s[24:25], -v[112:113]
	v_add_f64 v[6:7], v[114:115], v[6:7]
	v_add_f64 v[4:5], v[112:113], v[4:5]
	v_mul_f64 v[112:113], v[183:184], s[52:53]
	v_mul_f64 v[114:115], v[48:49], s[56:57]
	v_fma_f64 v[130:131], v[173:174], s[36:37], v[112:113]
	v_fma_f64 v[116:117], v[153:154], s[16:17], -v[114:115]
	v_fma_f64 v[112:113], v[173:174], s[36:37], -v[112:113]
	v_add_f64 v[6:7], v[130:131], v[6:7]
	v_mul_f64 v[130:131], v[159:160], s[50:51]
	v_add_f64 v[116:117], v[116:117], v[148:149]
	v_add_f64 v[4:5], v[112:113], v[4:5]
	v_mul_f64 v[112:113], v[195:196], s[34:35]
	v_fma_f64 v[132:133], v[161:162], s[24:25], -v[130:131]
	v_add_f64 v[116:117], v[132:133], v[116:117]
	v_fma_f64 v[132:133], v[185:186], s[28:29], v[112:113]
	v_fma_f64 v[112:113], v[185:186], s[28:29], -v[112:113]
	v_add_f64 v[6:7], v[132:133], v[6:7]
	v_mul_f64 v[132:133], v[169:170], s[52:53]
	v_add_f64 v[4:5], v[112:113], v[4:5]
	v_mul_f64 v[112:113], v[203:204], s[42:43]
	v_fma_f64 v[138:139], v[167:168], s[36:37], -v[132:133]
	v_fma_f64 v[132:133], v[167:168], s[36:37], v[132:133]
	v_add_f64 v[116:117], v[138:139], v[116:117]
	v_fma_f64 v[138:139], v[189:190], s[26:27], v[112:113]
	v_fma_f64 v[112:113], v[189:190], s[26:27], -v[112:113]
	v_add_f64 v[6:7], v[138:139], v[6:7]
	v_mul_f64 v[138:139], v[191:192], s[34:35]
	v_add_f64 v[4:5], v[112:113], v[4:5]
	v_fma_f64 v[112:113], v[153:154], s[16:17], v[114:115]
	v_mul_f64 v[114:115], v[50:51], s[30:31]
	v_fma_f64 v[140:141], v[181:182], s[28:29], -v[138:139]
	v_fma_f64 v[138:139], v[181:182], s[28:29], v[138:139]
	v_add_f64 v[112:113], v[112:113], v[213:214]
	v_add_f64 v[116:117], v[140:141], v[116:117]
	v_fma_f64 v[140:141], v[193:194], s[10:11], v[114:115]
	v_fma_f64 v[114:115], v[193:194], s[10:11], -v[114:115]
	v_add_f64 v[6:7], v[140:141], v[6:7]
	v_mul_f64 v[140:141], v[197:198], s[42:43]
	v_add_f64 v[114:115], v[114:115], v[4:5]
	v_fma_f64 v[4:5], v[161:162], s[24:25], v[130:131]
	s_mov_b32 s43, 0x3fc7851a
	s_mov_b32 s42, s34
	v_fma_f64 v[144:145], v[179:180], s[26:27], -v[140:141]
	v_fma_f64 v[140:141], v[179:180], s[26:27], v[140:141]
	v_add_f64 v[4:5], v[4:5], v[112:113]
	v_mul_f64 v[112:113], v[165:166], s[34:35]
	v_add_f64 v[116:117], v[144:145], v[116:117]
	v_mul_f64 v[144:145], v[199:200], s[30:31]
	v_add_f64 v[4:5], v[132:133], v[4:5]
	v_fma_f64 v[130:131], v[157:158], s[28:29], v[112:113]
	v_fma_f64 v[112:113], v[157:158], s[28:29], -v[112:113]
	v_mul_f64 v[132:133], v[177:178], s[20:21]
	v_fma_f64 v[146:147], v[175:176], s[10:11], -v[144:145]
	v_add_f64 v[4:5], v[138:139], v[4:5]
	v_add_f64 v[130:131], v[130:131], v[150:151]
	;; [unrolled: 1-line block ×3, first 2 shown]
	v_fma_f64 v[134:135], v[163:164], s[18:19], v[132:133]
	v_fma_f64 v[132:133], v[163:164], s[18:19], -v[132:133]
	v_add_f64 v[146:147], v[146:147], v[116:117]
	v_mul_f64 v[116:117], v[48:49], s[34:35]
	v_add_f64 v[4:5], v[140:141], v[4:5]
	v_mul_f64 v[140:141], v[48:49], s[8:9]
	v_add_f64 v[130:131], v[134:135], v[130:131]
	v_add_f64 v[112:113], v[132:133], v[112:113]
	v_mul_f64 v[132:133], v[183:184], s[46:47]
	v_mul_f64 v[134:135], v[159:160], s[20:21]
	v_fma_f64 v[148:149], v[153:154], s[28:29], -v[116:117]
	v_fma_f64 v[116:117], v[153:154], s[28:29], v[116:117]
	v_fma_f64 v[138:139], v[173:174], s[10:11], v[132:133]
	v_fma_f64 v[150:151], v[161:162], s[18:19], -v[134:135]
	v_fma_f64 v[134:135], v[161:162], s[18:19], v[134:135]
	v_fma_f64 v[132:133], v[173:174], s[10:11], -v[132:133]
	v_add_f64 v[148:149], v[148:149], v[215:216]
	v_add_f64 v[116:117], v[116:117], v[217:218]
	;; [unrolled: 1-line block ×3, first 2 shown]
	v_mul_f64 v[138:139], v[165:166], s[8:9]
	v_add_f64 v[112:113], v[132:133], v[112:113]
	v_mul_f64 v[132:133], v[195:196], s[52:53]
	v_add_f64 v[148:149], v[150:151], v[148:149]
	v_add_f64 v[116:117], v[134:135], v[116:117]
	v_mul_f64 v[134:135], v[177:178], s[42:43]
	v_fma_f64 v[150:151], v[157:158], s[2:3], v[138:139]
	v_fma_f64 v[138:139], v[157:158], s[2:3], -v[138:139]
	v_fma_f64 v[213:214], v[185:186], s[36:37], v[132:133]
	v_fma_f64 v[132:133], v[185:186], s[36:37], -v[132:133]
	v_add_f64 v[148:149], v[211:212], v[148:149]
	v_fma_f64 v[211:212], v[153:154], s[2:3], -v[140:141]
	v_fma_f64 v[140:141], v[153:154], s[2:3], v[140:141]
	v_add_f64 v[150:151], v[150:151], v[219:220]
	v_add_f64 v[136:137], v[138:139], v[136:137]
	v_fma_f64 v[138:139], v[163:164], s[28:29], v[134:135]
	v_fma_f64 v[134:135], v[163:164], s[28:29], -v[134:135]
	v_add_f64 v[130:131], v[213:214], v[130:131]
	v_add_f64 v[112:113], v[132:133], v[112:113]
	v_mul_f64 v[132:133], v[203:204], s[22:23]
	v_add_f64 v[211:212], v[211:212], v[221:222]
	v_add_f64 v[140:141], v[140:141], v[233:234]
	v_mov_b32_e32 v224, v43
	v_mov_b32_e32 v223, v42
	;; [unrolled: 1-line block ×4, first 2 shown]
	v_add_f64 v[138:139], v[138:139], v[150:151]
	v_mul_f64 v[150:151], v[191:192], s[52:53]
	v_add_f64 v[134:135], v[134:135], v[136:137]
	v_fma_f64 v[136:137], v[167:168], s[10:11], v[209:210]
	v_fma_f64 v[213:214], v[181:182], s[36:37], -v[150:151]
	v_add_f64 v[116:117], v[136:137], v[116:117]
	v_mul_f64 v[136:137], v[183:184], s[20:21]
	v_add_f64 v[148:149], v[213:214], v[148:149]
	v_mul_f64 v[213:214], v[159:160], s[42:43]
	v_fma_f64 v[209:210], v[173:174], s[18:19], v[136:137]
	v_fma_f64 v[215:216], v[161:162], s[28:29], -v[213:214]
	v_add_f64 v[138:139], v[209:210], v[138:139]
	v_mul_f64 v[209:210], v[197:198], s[22:23]
	v_add_f64 v[211:212], v[215:216], v[211:212]
	v_fma_f64 v[215:216], v[189:190], s[16:17], v[132:133]
	v_fma_f64 v[132:133], v[189:190], s[16:17], -v[132:133]
	v_add_f64 v[130:131], v[215:216], v[130:131]
	v_fma_f64 v[215:216], v[179:180], s[16:17], -v[209:210]
	v_add_f64 v[112:113], v[132:133], v[112:113]
	v_fma_f64 v[132:133], v[175:176], s[10:11], v[144:145]
	v_add_f64 v[148:149], v[215:216], v[148:149]
	v_mul_f64 v[215:216], v[169:170], s[20:21]
	v_add_f64 v[144:145], v[132:133], v[4:5]
	v_mul_f64 v[4:5], v[50:51], s[54:55]
	v_fma_f64 v[217:218], v[167:168], s[18:19], -v[215:216]
	v_fma_f64 v[132:133], v[193:194], s[2:3], v[4:5]
	v_fma_f64 v[4:5], v[193:194], s[2:3], -v[4:5]
	v_add_f64 v[211:212], v[217:218], v[211:212]
	v_add_f64 v[217:218], v[132:133], v[130:131]
	v_fma_f64 v[132:133], v[181:182], s[36:37], v[150:151]
	v_fma_f64 v[130:131], v[173:174], s[18:19], -v[136:137]
	v_add_f64 v[112:113], v[4:5], v[112:113]
	v_mul_f64 v[136:137], v[199:200], s[54:55]
	v_add_f64 v[116:117], v[132:133], v[116:117]
	v_mul_f64 v[132:133], v[195:196], s[50:51]
	v_add_f64 v[130:131], v[130:131], v[134:135]
	v_fma_f64 v[4:5], v[185:186], s[24:25], -v[132:133]
	v_fma_f64 v[134:135], v[185:186], s[24:25], v[132:133]
	v_add_f64 v[4:5], v[4:5], v[130:131]
	v_fma_f64 v[130:131], v[179:180], s[16:17], v[209:210]
	v_add_f64 v[134:135], v[134:135], v[138:139]
	v_fma_f64 v[138:139], v[175:176], s[2:3], -v[136:137]
	v_fma_f64 v[136:137], v[175:176], s[2:3], v[136:137]
	v_add_f64 v[116:117], v[130:131], v[116:117]
	v_mul_f64 v[130:131], v[203:204], s[30:31]
	v_add_f64 v[148:149], v[138:139], v[148:149]
	v_fma_f64 v[138:139], v[161:162], s[28:29], v[213:214]
	v_add_f64 v[116:117], v[136:137], v[116:117]
	v_fma_f64 v[132:133], v[189:190], s[10:11], v[130:131]
	v_fma_f64 v[130:131], v[189:190], s[10:11], -v[130:131]
	v_add_f64 v[138:139], v[138:139], v[140:141]
	v_mul_f64 v[140:141], v[191:192], s[50:51]
	v_add_f64 v[132:133], v[132:133], v[134:135]
	v_fma_f64 v[134:135], v[167:168], s[18:19], v[215:216]
	v_add_f64 v[4:5], v[130:131], v[4:5]
	v_fma_f64 v[130:131], v[181:182], s[24:25], v[140:141]
	v_fma_f64 v[150:151], v[181:182], s[24:25], -v[140:141]
	v_mov_b32_e32 v216, v35
	v_mov_b32_e32 v215, v34
	;; [unrolled: 1-line block ×4, first 2 shown]
	v_add_f64 v[134:135], v[134:135], v[138:139]
	v_mul_f64 v[138:139], v[197:198], s[30:31]
	v_add_f64 v[150:151], v[150:151], v[211:212]
	v_fma_f64 v[211:212], v[153:154], s[24:25], v[155:156]
	v_add_f64 v[130:131], v[130:131], v[134:135]
	v_mul_f64 v[134:135], v[165:166], s[44:45]
	v_fma_f64 v[209:210], v[179:180], s[10:11], -v[138:139]
	v_fma_f64 v[138:139], v[179:180], s[10:11], v[138:139]
	v_fma_f64 v[140:141], v[157:158], s[26:27], -v[134:135]
	v_fma_f64 v[134:135], v[157:158], s[26:27], v[134:135]
	v_add_f64 v[150:151], v[209:210], v[150:151]
	v_add_f64 v[130:131], v[138:139], v[130:131]
	v_add_f64 v[140:141], v[140:141], v[142:143]
	v_mul_f64 v[142:143], v[165:166], s[40:41]
	v_add_f64 v[124:125], v[134:135], v[124:125]
	v_mul_f64 v[134:135], v[177:178], s[8:9]
	v_fma_f64 v[165:166], v[157:158], s[24:25], -v[142:143]
	v_fma_f64 v[142:143], v[157:158], s[24:25], v[142:143]
	v_mul_f64 v[157:158], v[48:49], s[44:45]
	s_waitcnt vmcnt(0)
	v_add_f64 v[120:121], v[165:166], v[20:21]
	s_clause 0x1
	buffer_load_dword v20, off, s[60:63], 0 offset:148
	buffer_load_dword v21, off, s[60:63], 0 offset:152
	v_fma_f64 v[209:210], v[153:154], s[26:27], v[157:158]
	v_fma_f64 v[157:158], v[153:154], s[26:27], -v[157:158]
	v_fma_f64 v[153:154], v[153:154], s[24:25], -v[155:156]
	;; [unrolled: 1-line block ×3, first 2 shown]
	v_fma_f64 v[134:135], v[163:164], s[2:3], v[134:135]
	v_add_f64 v[126:127], v[142:143], v[126:127]
	v_mul_f64 v[142:143], v[159:160], s[8:9]
	v_mul_f64 v[159:160], v[159:160], s[52:53]
	v_add_f64 v[118:119], v[209:210], v[118:119]
	v_add_f64 v[128:129], v[157:158], v[128:129]
	;; [unrolled: 1-line block ×4, first 2 shown]
	v_mul_f64 v[155:156], v[177:178], s[52:53]
	v_add_f64 v[124:125], v[134:135], v[124:125]
	v_mul_f64 v[134:135], v[183:184], s[34:35]
	v_fma_f64 v[165:166], v[161:162], s[36:37], v[159:160]
	v_fma_f64 v[159:160], v[161:162], s[36:37], -v[159:160]
	v_mul_f64 v[177:178], v[197:198], s[8:9]
	v_fma_f64 v[157:158], v[163:164], s[36:37], -v[155:156]
	v_fma_f64 v[155:156], v[163:164], s[36:37], v[155:156]
	v_fma_f64 v[163:164], v[161:162], s[2:3], v[142:143]
	v_fma_f64 v[142:143], v[161:162], s[2:3], -v[142:143]
	v_mul_f64 v[161:162], v[169:170], s[44:45]
	v_add_f64 v[153:154], v[159:160], v[153:154]
	v_mul_f64 v[159:160], v[195:196], s[48:49]
	v_add_f64 v[120:121], v[157:158], v[120:121]
	v_add_f64 v[126:127], v[155:156], v[126:127]
	v_mul_f64 v[155:156], v[169:170], s[34:35]
	v_add_f64 v[128:129], v[142:143], v[128:129]
	v_fma_f64 v[142:143], v[173:174], s[28:29], -v[134:135]
	v_add_f64 v[118:119], v[163:164], v[118:119]
	v_fma_f64 v[134:135], v[173:174], s[28:29], v[134:135]
	v_mul_f64 v[169:170], v[203:204], s[8:9]
	v_fma_f64 v[163:164], v[167:168], s[28:29], v[155:156]
	v_fma_f64 v[155:156], v[167:168], s[28:29], -v[155:156]
	v_add_f64 v[140:141], v[142:143], v[140:141]
	v_mul_f64 v[142:143], v[183:184], s[44:45]
	v_add_f64 v[124:125], v[134:135], v[124:125]
	v_mul_f64 v[134:135], v[203:204], s[20:21]
	v_mul_f64 v[183:184], v[199:200], s[38:39]
	v_add_f64 v[118:119], v[163:164], v[118:119]
	v_mul_f64 v[163:164], v[191:192], s[48:49]
	v_add_f64 v[128:129], v[155:156], v[128:129]
	v_fma_f64 v[157:158], v[173:174], s[26:27], -v[142:143]
	v_fma_f64 v[142:143], v[173:174], s[26:27], v[142:143]
	v_fma_f64 v[155:156], v[185:186], s[18:19], -v[159:160]
	v_fma_f64 v[173:174], v[189:190], s[18:19], -v[134:135]
	v_fma_f64 v[159:160], v[185:186], s[18:19], v[159:160]
	v_fma_f64 v[134:135], v[189:190], s[18:19], v[134:135]
	v_add_f64 v[120:121], v[157:158], v[120:121]
	v_mul_f64 v[157:158], v[195:196], s[56:57]
	v_add_f64 v[126:127], v[142:143], v[126:127]
	v_fma_f64 v[142:143], v[181:182], s[18:19], v[163:164]
	v_fma_f64 v[163:164], v[181:182], s[18:19], -v[163:164]
	v_mul_f64 v[195:196], v[44:45], s[22:23]
	v_add_f64 v[120:121], v[155:156], v[120:121]
	v_mul_f64 v[155:156], v[50:51], s[38:39]
	v_add_f64 v[126:127], v[159:160], v[126:127]
	v_mul_f64 v[159:160], v[199:200], s[22:23]
	s_waitcnt vmcnt(0)
	v_add_f64 v[122:123], v[211:212], v[20:21]
	v_mov_b32_e32 v212, v31
	v_mov_b32_e32 v211, v30
	;; [unrolled: 1-line block ×4, first 2 shown]
	v_add_f64 v[122:123], v[165:166], v[122:123]
	v_fma_f64 v[165:166], v[167:168], s[26:27], v[161:162]
	v_fma_f64 v[161:162], v[167:168], s[26:27], -v[161:162]
	v_mul_f64 v[167:168], v[191:192], s[56:57]
	v_mul_f64 v[191:192], v[44:45], s[34:35]
	v_add_f64 v[122:123], v[165:166], v[122:123]
	v_fma_f64 v[165:166], v[185:186], s[16:17], -v[157:158]
	v_fma_f64 v[157:158], v[185:186], s[16:17], v[157:158]
	v_add_f64 v[153:154], v[161:162], v[153:154]
	v_mul_f64 v[161:162], v[50:51], s[44:45]
	v_fma_f64 v[185:186], v[193:194], s[36:37], -v[155:156]
	v_fma_f64 v[155:156], v[193:194], s[36:37], v[155:156]
	v_add_f64 v[122:123], v[142:143], v[122:123]
	v_add_f64 v[140:141], v[165:166], v[140:141]
	v_fma_f64 v[165:166], v[181:182], s[16:17], v[167:168]
	v_fma_f64 v[167:168], v[181:182], s[16:17], -v[167:168]
	v_mul_f64 v[181:182], v[197:198], s[20:21]
	v_fma_f64 v[142:143], v[189:190], s[2:3], -v[169:170]
	v_fma_f64 v[169:170], v[189:190], s[2:3], v[169:170]
	v_mul_f64 v[189:190], v[199:200], s[44:45]
	v_add_f64 v[124:125], v[157:158], v[124:125]
	v_fma_f64 v[157:158], v[179:180], s[2:3], v[177:178]
	v_fma_f64 v[177:178], v[179:180], s[2:3], -v[177:178]
	v_add_f64 v[153:154], v[163:164], v[153:154]
	v_fma_f64 v[163:164], v[175:176], s[36:37], v[183:184]
	v_fma_f64 v[183:184], v[175:176], s[36:37], -v[183:184]
	v_add_f64 v[140:141], v[173:174], v[140:141]
	v_add_f64 v[118:119], v[165:166], v[118:119]
	;; [unrolled: 1-line block ×3, first 2 shown]
	v_fma_f64 v[165:166], v[179:180], s[18:19], v[181:182]
	v_mul_f64 v[167:168], v[50:51], s[22:23]
	v_fma_f64 v[181:182], v[179:180], s[18:19], -v[181:182]
	v_fma_f64 v[173:174], v[193:194], s[26:27], -v[161:162]
	v_add_f64 v[120:121], v[142:143], v[120:121]
	v_fma_f64 v[161:162], v[193:194], s[26:27], v[161:162]
	v_add_f64 v[122:123], v[157:158], v[122:123]
	v_mul_f64 v[142:143], v[207:208], s[8:9]
	v_add_f64 v[124:125], v[134:135], v[124:125]
	v_fma_f64 v[134:135], v[175:176], s[16:17], v[159:160]
	v_add_f64 v[126:127], v[169:170], v[126:127]
	v_fma_f64 v[159:160], v[175:176], s[16:17], -v[159:160]
	v_add_f64 v[153:154], v[177:178], v[153:154]
	v_mul_f64 v[179:180], v[207:208], s[22:23]
	v_mul_f64 v[169:170], v[44:45], s[50:51]
	v_add_f64 v[140:141], v[185:186], v[140:141]
	v_mul_f64 v[185:186], v[207:208], s[34:35]
	v_add_f64 v[118:119], v[165:166], v[118:119]
	v_fma_f64 v[138:139], v[193:194], s[16:17], -v[167:168]
	v_add_f64 v[128:129], v[181:182], v[128:129]
	v_fma_f64 v[165:166], v[175:176], s[26:27], v[189:190]
	v_mul_f64 v[181:182], v[207:208], s[46:47]
	v_add_f64 v[157:158], v[173:174], v[4:5]
	v_mul_f64 v[173:174], v[207:208], s[50:51]
	v_fma_f64 v[167:168], v[193:194], s[16:17], v[167:168]
	v_add_f64 v[161:162], v[161:162], v[132:133]
	v_mul_f64 v[4:5], v[44:45], s[8:9]
	v_fma_f64 v[189:190], v[175:176], s[26:27], -v[189:190]
	v_add_f64 v[175:176], v[134:135], v[122:123]
	v_add_f64 v[134:135], v[0:1], v[26:27]
	v_mul_f64 v[193:194], v[44:45], s[46:47]
	v_add_f64 v[155:156], v[155:156], v[124:125]
	v_fma_f64 v[124:125], v[171:172], s[28:29], v[191:192]
	v_fma_f64 v[122:123], v[187:188], s[16:17], -v[179:180]
	v_fma_f64 v[199:200], v[171:172], s[24:25], v[169:170]
	v_fma_f64 v[169:170], v[171:172], s[24:25], -v[169:170]
	;; [unrolled: 2-line block ×3, first 2 shown]
	v_fma_f64 v[185:186], v[187:188], s[28:29], v[185:186]
	v_add_f64 v[163:164], v[163:164], v[118:119]
	v_add_f64 v[120:121], v[138:139], v[120:121]
	v_fma_f64 v[138:139], v[187:188], s[2:3], v[142:143]
	v_add_f64 v[165:166], v[165:166], v[130:131]
	v_fma_f64 v[130:131], v[187:188], s[10:11], -v[181:182]
	v_fma_f64 v[142:143], v[187:188], s[2:3], -v[142:143]
	v_fma_f64 v[136:137], v[187:188], s[24:25], v[173:174]
	v_add_f64 v[167:168], v[167:168], v[126:127]
	v_fma_f64 v[118:119], v[187:188], s[24:25], -v[173:174]
	v_fma_f64 v[177:178], v[171:172], s[2:3], -v[4:5]
	v_fma_f64 v[197:198], v[171:172], s[2:3], v[4:5]
	v_add_f64 v[150:151], v[189:190], v[150:151]
	v_fma_f64 v[189:190], v[171:172], s[16:17], v[195:196]
	v_fma_f64 v[173:174], v[171:172], s[10:11], v[193:194]
	;; [unrolled: 1-line block ×3, first 2 shown]
	v_fma_f64 v[187:188], v[171:172], s[16:17], -v[195:196]
	v_add_f64 v[183:184], v[183:184], v[128:129]
	v_fma_f64 v[193:194], v[171:172], s[10:11], -v[193:194]
	v_fma_f64 v[171:172], v[171:172], s[28:29], -v[191:192]
	v_add_f64 v[128:129], v[124:125], v[175:176]
	v_add_f64 v[122:123], v[122:123], v[157:158]
	;; [unrolled: 1-line block ×3, first 2 shown]
	v_mul_lo_u16 v0, v152, 17
	v_add_f64 v[4:5], v[138:139], v[6:7]
	v_add_f64 v[6:7], v[159:160], v[153:154]
	;; [unrolled: 1-line block ×5, first 2 shown]
	v_mov_b32_e32 v24, v66
	v_mov_b32_e32 v25, v67
	;; [unrolled: 1-line block ×4, first 2 shown]
	s_clause 0xf
	buffer_load_dword v64, off, s[60:63], 0 offset:124
	buffer_load_dword v65, off, s[60:63], 0 offset:128
	;; [unrolled: 1-line block ×12, first 2 shown]
	buffer_load_dword v76, off, s[60:63], 0
	buffer_load_dword v77, off, s[60:63], 0 offset:4
	buffer_load_dword v78, off, s[60:63], 0 offset:8
	;; [unrolled: 1-line block ×3, first 2 shown]
	v_add_f64 v[138:139], v[136:137], v[217:218]
	s_clause 0x4
	buffer_load_dword v217, off, s[60:63], 0 offset:28
	buffer_load_dword v218, off, s[60:63], 0 offset:32
	;; [unrolled: 1-line block ×5, first 2 shown]
	v_add_f64 v[124:125], v[173:174], v[163:164]
	v_add_f64 v[120:121], v[189:190], v[165:166]
	;; [unrolled: 1-line block ×6, first 2 shown]
	v_and_b32_e32 v0, 0xffff, v0
	v_add_f64 v[136:137], v[169:170], v[148:149]
	v_add_f64 v[142:143], v[179:180], v[161:162]
	;; [unrolled: 1-line block ×7, first 2 shown]
	s_waitcnt vmcnt(0)
	v_lshl_add_u32 v0, v0, 4, v1
	ds_write_b128 v0, v[132:135]
	ds_write_b128 v0, v[128:131] offset:16
	ds_write_b128 v0, v[124:127] offset:32
	;; [unrolled: 1-line block ×16, first 2 shown]
.LBB0_17:
	s_or_b32 exec_lo, exec_lo, s1
	s_waitcnt lgkmcnt(0)
	s_waitcnt_vscnt null, 0x0
	s_barrier
	buffer_gl0_inv
	ds_read_b128 v[4:7], v249 offset:1632
	ds_read_b128 v[0:3], v249
	ds_read_b128 v[8:11], v249 offset:3264
	ds_read_b128 v[12:15], v249 offset:4896
	;; [unrolled: 1-line block ×9, first 2 shown]
	s_clause 0x3
	buffer_load_dword v32, off, s[60:63], 0 offset:60
	buffer_load_dword v33, off, s[60:63], 0 offset:64
	buffer_load_dword v34, off, s[60:63], 0 offset:68
	buffer_load_dword v35, off, s[60:63], 0 offset:72
	s_mov_b32 s8, 0xf8bb580b
	s_mov_b32 s10, 0x8764f0ba
	;; [unrolled: 1-line block ×8, first 2 shown]
	s_waitcnt lgkmcnt(10)
	v_mul_f64 v[128:129], v[26:27], v[6:7]
	v_mul_f64 v[50:51], v[26:27], v[4:5]
	s_waitcnt lgkmcnt(8)
	v_mul_f64 v[132:133], v[219:220], v[10:11]
	v_mul_f64 v[30:31], v[219:220], v[8:9]
	s_waitcnt lgkmcnt(7)
	v_mul_f64 v[58:59], v[215:216], v[14:15]
	s_waitcnt lgkmcnt(6)
	;; [unrolled: 2-line block ×4, first 2 shown]
	v_mul_f64 v[42:43], v[231:232], v[112:113]
	v_mul_f64 v[138:139], v[231:232], v[114:115]
	s_mov_b32 s16, 0x8eee2c13
	s_mov_b32 s20, 0xd9c712b6
	;; [unrolled: 1-line block ×13, first 2 shown]
	v_fma_f64 v[128:129], v[24:25], v[4:5], v[128:129]
	v_fma_f64 v[48:49], v[24:25], v[6:7], -v[50:51]
	s_clause 0x7
	buffer_load_dword v24, off, s[60:63], 0 offset:76
	buffer_load_dword v25, off, s[60:63], 0 offset:80
	buffer_load_dword v26, off, s[60:63], 0 offset:84
	buffer_load_dword v27, off, s[60:63], 0 offset:88
	buffer_load_dword v20, off, s[60:63], 0 offset:44
	buffer_load_dword v21, off, s[60:63], 0 offset:48
	buffer_load_dword v22, off, s[60:63], 0 offset:52
	buffer_load_dword v23, off, s[60:63], 0 offset:56
	v_fma_f64 v[8:9], v[217:218], v[8:9], v[132:133]
	v_fma_f64 v[10:11], v[217:218], v[10:11], -v[30:31]
	v_fma_f64 v[36:37], v[225:226], v[106:107], -v[38:39]
	s_mov_b32 s2, s8
	s_mov_b32 s29, 0x3fefac9e
	;; [unrolled: 1-line block ×9, first 2 shown]
	s_waitcnt vmcnt(0) lgkmcnt(0)
	s_barrier
	buffer_gl0_inv
	v_add_f64 v[28:29], v[0:1], v[128:129]
	v_add_f64 v[30:31], v[2:3], v[48:49]
	;; [unrolled: 1-line block ×4, first 2 shown]
	v_mul_f64 v[130:131], v[34:35], v[124:125]
	v_mul_f64 v[6:7], v[34:35], v[126:127]
	;; [unrolled: 1-line block ×3, first 2 shown]
	v_fma_f64 v[4:5], v[32:33], v[126:127], -v[130:131]
	v_mul_f64 v[126:127], v[227:228], v[106:107]
	v_fma_f64 v[6:7], v[32:33], v[124:125], v[6:7]
	v_mul_f64 v[130:131], v[223:224], v[110:111]
	v_fma_f64 v[32:33], v[221:222], v[110:111], -v[34:35]
	v_mul_f64 v[50:51], v[26:27], v[122:123]
	v_mul_f64 v[54:55], v[26:27], v[120:121]
	v_mul_f64 v[26:27], v[215:216], v[12:13]
	v_mul_f64 v[134:135], v[22:23], v[118:119]
	v_mul_f64 v[46:47], v[22:23], v[116:117]
	v_mul_f64 v[22:23], v[211:212], v[16:17]
	v_fma_f64 v[12:13], v[213:214], v[12:13], v[58:59]
	v_fma_f64 v[16:17], v[209:210], v[16:17], v[136:137]
	v_add_f64 v[40:41], v[48:49], -v[4:5]
	v_fma_f64 v[44:45], v[225:226], v[104:105], v[126:127]
	v_add_f64 v[34:35], v[128:129], v[6:7]
	v_fma_f64 v[38:39], v[221:222], v[108:109], v[130:131]
	v_fma_f64 v[50:51], v[24:25], v[120:121], v[50:51]
	v_fma_f64 v[52:53], v[24:25], v[122:123], -v[54:55]
	v_fma_f64 v[14:15], v[213:214], v[14:15], -v[26:27]
	v_fma_f64 v[24:25], v[20:21], v[116:117], v[134:135]
	v_fma_f64 v[26:27], v[20:21], v[118:119], -v[46:47]
	v_fma_f64 v[18:19], v[209:210], v[18:19], -v[22:23]
	v_fma_f64 v[22:23], v[229:230], v[114:115], -v[42:43]
	v_add_f64 v[42:43], v[48:49], v[4:5]
	v_add_f64 v[46:47], v[128:129], -v[6:7]
	v_fma_f64 v[20:21], v[229:230], v[112:113], v[138:139]
	v_mul_f64 v[114:115], v[40:41], s[8:9]
	v_mul_f64 v[118:119], v[40:41], s[16:17]
	;; [unrolled: 1-line block ×3, first 2 shown]
	v_add_f64 v[48:49], v[8:9], v[50:51]
	v_add_f64 v[54:55], v[10:11], -v[52:53]
	v_add_f64 v[10:11], v[10:11], v[52:53]
	v_add_f64 v[56:57], v[12:13], v[24:25]
	v_add_f64 v[58:59], v[14:15], v[26:27]
	v_add_f64 v[104:105], v[12:13], -v[24:25]
	v_add_f64 v[106:107], v[14:15], -v[26:27]
	v_add_f64 v[12:13], v[28:29], v[12:13]
	v_add_f64 v[14:15], v[30:31], v[14:15]
	v_mul_f64 v[116:117], v[42:43], s[10:11]
	v_mul_f64 v[28:29], v[40:41], s[22:23]
	;; [unrolled: 1-line block ×3, first 2 shown]
	v_add_f64 v[8:9], v[8:9], -v[50:51]
	v_mul_f64 v[120:121], v[42:43], s[20:21]
	v_mul_f64 v[124:125], v[42:43], s[30:31]
	v_mul_f64 v[40:41], v[40:41], s[34:35]
	v_mul_f64 v[42:43], v[42:43], s[38:39]
	v_fma_f64 v[157:158], v[34:35], s[10:11], v[114:115]
	v_fma_f64 v[114:115], v[34:35], s[10:11], -v[114:115]
	v_fma_f64 v[161:162], v[34:35], s[20:21], v[118:119]
	v_fma_f64 v[118:119], v[34:35], s[20:21], -v[118:119]
	v_fma_f64 v[169:170], v[34:35], s[30:31], v[122:123]
	v_fma_f64 v[122:123], v[34:35], s[30:31], -v[122:123]
	v_mul_f64 v[126:127], v[54:55], s[16:17]
	v_mul_f64 v[128:129], v[10:11], s[20:21]
	;; [unrolled: 1-line block ×6, first 2 shown]
	v_add_f64 v[12:13], v[12:13], v[16:17]
	v_add_f64 v[14:15], v[14:15], v[18:19]
	v_fma_f64 v[159:160], v[46:47], s[2:3], v[116:117]
	v_fma_f64 v[165:166], v[34:35], s[24:25], v[28:29]
	;; [unrolled: 1-line block ×3, first 2 shown]
	v_fma_f64 v[28:29], v[34:35], s[24:25], -v[28:29]
	v_fma_f64 v[30:31], v[46:47], s[22:23], v[30:31]
	v_mul_f64 v[138:139], v[54:55], s[28:29]
	v_mul_f64 v[140:141], v[10:11], s[24:25]
	;; [unrolled: 1-line block ×6, first 2 shown]
	v_fma_f64 v[116:117], v[46:47], s[8:9], v[116:117]
	v_fma_f64 v[163:164], v[46:47], s[18:19], v[120:121]
	;; [unrolled: 1-line block ×7, first 2 shown]
	v_fma_f64 v[34:35], v[34:35], s[38:39], -v[40:41]
	v_fma_f64 v[40:41], v[46:47], s[34:35], v[42:43]
	v_add_f64 v[12:13], v[12:13], v[44:45]
	v_add_f64 v[14:15], v[14:15], v[36:37]
	v_fma_f64 v[42:43], v[48:49], s[20:21], v[126:127]
	v_fma_f64 v[46:47], v[8:9], s[18:19], v[128:129]
	v_add_f64 v[157:158], v[0:1], v[157:158]
	v_add_f64 v[159:160], v[2:3], v[159:160]
	;; [unrolled: 1-line block ×3, first 2 shown]
	v_add_f64 v[112:113], v[18:19], -v[22:23]
	v_mul_f64 v[18:19], v[106:107], s[18:19]
	v_mul_f64 v[150:151], v[58:59], s[20:21]
	v_fma_f64 v[181:182], v[48:49], s[38:39], v[134:135]
	v_fma_f64 v[183:184], v[8:9], s[34:35], v[136:137]
	v_fma_f64 v[134:135], v[48:49], s[38:39], -v[134:135]
	v_fma_f64 v[136:137], v[8:9], s[40:41], v[136:137]
	v_add_f64 v[28:29], v[0:1], v[28:29]
	v_add_f64 v[30:31], v[2:3], v[30:31]
	v_mul_f64 v[153:154], v[106:107], s[8:9]
	v_fma_f64 v[126:127], v[48:49], s[20:21], -v[126:127]
	v_fma_f64 v[128:129], v[8:9], s[16:17], v[128:129]
	v_fma_f64 v[177:178], v[48:49], s[30:31], v[130:131]
	;; [unrolled: 1-line block ×3, first 2 shown]
	v_fma_f64 v[130:131], v[48:49], s[30:31], -v[130:131]
	v_add_f64 v[12:13], v[12:13], v[38:39]
	v_add_f64 v[14:15], v[14:15], v[32:33]
	v_fma_f64 v[132:133], v[8:9], s[26:27], v[132:133]
	v_fma_f64 v[185:186], v[48:49], s[24:25], v[138:139]
	;; [unrolled: 1-line block ×3, first 2 shown]
	v_fma_f64 v[138:139], v[48:49], s[24:25], -v[138:139]
	v_fma_f64 v[140:141], v[8:9], s[28:29], v[140:141]
	v_fma_f64 v[189:190], v[48:49], s[10:11], v[54:55]
	;; [unrolled: 1-line block ×3, first 2 shown]
	v_fma_f64 v[48:49], v[48:49], s[10:11], -v[54:55]
	v_fma_f64 v[8:9], v[8:9], s[2:3], v[10:11]
	v_fma_f64 v[10:11], v[56:57], s[24:25], v[142:143]
	v_fma_f64 v[54:55], v[104:105], s[28:29], v[144:145]
	v_add_f64 v[118:119], v[0:1], v[118:119]
	v_add_f64 v[120:121], v[2:3], v[120:121]
	;; [unrolled: 1-line block ×4, first 2 shown]
	v_mul_f64 v[146:147], v[106:107], s[40:41]
	v_mul_f64 v[148:149], v[58:59], s[38:39]
	;; [unrolled: 1-line block ×4, first 2 shown]
	v_fma_f64 v[197:198], v[56:57], s[20:21], v[18:19]
	v_add_f64 v[12:13], v[12:13], v[20:21]
	v_add_f64 v[14:15], v[14:15], v[22:23]
	;; [unrolled: 1-line block ×16, first 2 shown]
	v_fma_f64 v[199:200], v[104:105], s[16:17], v[150:151]
	v_fma_f64 v[18:19], v[56:57], s[20:21], -v[18:19]
	v_fma_f64 v[150:151], v[104:105], s[18:19], v[150:151]
	v_add_f64 v[28:29], v[134:135], v[28:29]
	v_add_f64 v[30:31], v[136:137], v[30:31]
	;; [unrolled: 1-line block ×5, first 2 shown]
	v_mul_f64 v[58:59], v[58:59], s[30:31]
	v_fma_f64 v[142:143], v[56:57], s[24:25], -v[142:143]
	v_add_f64 v[22:23], v[126:127], v[22:23]
	v_add_f64 v[24:25], v[128:129], v[114:115]
	;; [unrolled: 1-line block ×3, first 2 shown]
	v_add_f64 v[16:17], v[16:17], -v[20:21]
	v_add_f64 v[120:121], v[185:186], v[167:168]
	v_mul_f64 v[20:21], v[112:113], s[26:27]
	v_fma_f64 v[144:145], v[104:105], s[22:23], v[144:145]
	v_fma_f64 v[193:194], v[56:57], s[38:39], v[146:147]
	;; [unrolled: 1-line block ×3, first 2 shown]
	v_add_f64 v[2:3], v[8:9], v[2:3]
	v_add_f64 v[8:9], v[10:11], v[34:35]
	;; [unrolled: 1-line block ×3, first 2 shown]
	v_fma_f64 v[40:41], v[56:57], s[10:11], v[153:154]
	v_mul_f64 v[34:35], v[110:111], s[30:31]
	v_fma_f64 v[146:147], v[56:57], s[38:39], -v[146:147]
	v_fma_f64 v[148:149], v[104:105], s[40:41], v[148:149]
	v_add_f64 v[26:27], v[177:178], v[116:117]
	v_add_f64 v[46:47], v[130:131], v[118:119]
	;; [unrolled: 1-line block ×8, first 2 shown]
	v_fma_f64 v[48:49], v[104:105], s[2:3], v[155:156]
	v_mul_f64 v[50:51], v[112:113], s[28:29]
	v_mul_f64 v[52:53], v[110:111], s[24:25]
	v_fma_f64 v[54:55], v[56:57], s[10:11], -v[153:154]
	v_fma_f64 v[132:133], v[104:105], s[8:9], v[155:156]
	v_add_f64 v[18:19], v[18:19], v[28:29]
	v_add_f64 v[28:29], v[150:151], v[30:31]
	v_fma_f64 v[30:31], v[56:57], s[30:31], -v[106:107]
	v_add_f64 v[116:117], v[181:182], v[163:164]
	v_fma_f64 v[134:135], v[56:57], s[30:31], v[106:107]
	v_mul_f64 v[106:107], v[112:113], s[8:9]
	v_add_f64 v[118:119], v[183:184], v[165:166]
	v_add_f64 v[22:23], v[142:143], v[22:23]
	v_fma_f64 v[136:137], v[104:105], s[36:37], v[58:59]
	v_fma_f64 v[56:57], v[104:105], s[26:27], v[58:59]
	;; [unrolled: 1-line block ×3, first 2 shown]
	v_add_f64 v[40:41], v[40:41], v[120:121]
	v_fma_f64 v[20:21], v[108:109], s[30:31], -v[20:21]
	v_mul_f64 v[120:121], v[110:111], s[10:11]
	v_add_f64 v[24:25], v[144:145], v[24:25]
	v_fma_f64 v[104:105], v[16:17], s[36:37], v[34:35]
	v_fma_f64 v[34:35], v[16:17], s[26:27], v[34:35]
	v_add_f64 v[26:27], v[193:194], v[26:27]
	v_add_f64 v[46:47], v[146:147], v[46:47]
	;; [unrolled: 1-line block ×4, first 2 shown]
	v_fma_f64 v[126:127], v[108:109], s[24:25], v[50:51]
	v_fma_f64 v[138:139], v[16:17], s[22:23], v[52:53]
	v_add_f64 v[54:55], v[54:55], v[122:123]
	v_fma_f64 v[50:51], v[108:109], s[24:25], -v[50:51]
	v_fma_f64 v[52:53], v[16:17], s[28:29], v[52:53]
	v_add_f64 v[122:123], v[132:133], v[124:125]
	v_mul_f64 v[124:125], v[112:113], s[34:35]
	v_mul_f64 v[132:133], v[110:111], s[38:39]
	;; [unrolled: 1-line block ×4, first 2 shown]
	v_add_f64 v[0:1], v[30:31], v[0:1]
	v_add_f64 v[30:31], v[36:37], -v[32:33]
	v_add_f64 v[32:33], v[36:37], v[32:33]
	v_add_f64 v[42:43], v[179:180], v[161:162]
	v_add_f64 v[116:117], v[197:198], v[116:117]
	v_fma_f64 v[36:37], v[108:109], s[10:11], v[106:107]
	v_add_f64 v[128:129], v[189:190], v[171:172]
	v_add_f64 v[118:119], v[199:200], v[118:119]
	v_add_f64 v[2:3], v[56:57], v[2:3]
	v_add_f64 v[56:57], v[20:21], v[22:23]
	v_fma_f64 v[20:21], v[16:17], s[2:3], v[120:121]
	v_fma_f64 v[22:23], v[108:109], s[10:11], -v[106:107]
	v_add_f64 v[130:131], v[191:192], v[173:174]
	v_add_f64 v[8:9], v[58:59], v[8:9]
	;; [unrolled: 1-line block ×3, first 2 shown]
	v_fma_f64 v[24:25], v[16:17], s[8:9], v[120:121]
	v_add_f64 v[10:11], v[104:105], v[10:11]
	v_add_f64 v[34:35], v[126:127], v[26:27]
	;; [unrolled: 1-line block ×4, first 2 shown]
	v_fma_f64 v[26:27], v[108:109], s[38:39], v[124:125]
	v_fma_f64 v[52:53], v[16:17], s[40:41], v[132:133]
	v_fma_f64 v[104:105], v[108:109], s[38:39], -v[124:125]
	v_fma_f64 v[106:107], v[16:17], s[34:35], v[132:133]
	v_fma_f64 v[114:115], v[108:109], s[20:21], v[112:113]
	;; [unrolled: 1-line block ×3, first 2 shown]
	v_fma_f64 v[108:109], v[108:109], s[20:21], -v[112:113]
	v_fma_f64 v[16:17], v[16:17], s[18:19], v[110:111]
	v_add_f64 v[110:111], v[44:45], v[38:39]
	v_add_f64 v[38:39], v[44:45], -v[38:39]
	v_mul_f64 v[44:45], v[30:31], s[34:35]
	v_mul_f64 v[112:113], v[32:33], s[38:39]
	v_add_f64 v[42:43], v[195:196], v[42:43]
	v_add_f64 v[36:37], v[36:37], v[116:117]
	v_mul_f64 v[116:117], v[30:31], s[2:3]
	v_mul_f64 v[124:125], v[32:33], s[10:11]
	v_add_f64 v[128:129], v[134:135], v[128:129]
	v_add_f64 v[118:119], v[20:21], v[118:119]
	v_mul_f64 v[20:21], v[30:31], s[26:27]
	v_mul_f64 v[126:127], v[32:33], s[30:31]
	v_add_f64 v[18:19], v[22:23], v[18:19]
	v_mul_f64 v[22:23], v[30:31], s[18:19]
	v_mul_f64 v[132:133], v[32:33], s[20:21]
	v_add_f64 v[130:131], v[136:137], v[130:131]
	v_add_f64 v[134:135], v[24:25], v[28:29]
	v_mul_f64 v[24:25], v[30:31], s[22:23]
	v_mul_f64 v[28:29], v[32:33], s[24:25]
	v_add_f64 v[40:41], v[26:27], v[40:41]
	v_add_f64 v[48:49], v[52:53], v[48:49]
	;; [unrolled: 1-line block ×5, first 2 shown]
	v_fma_f64 v[16:17], v[110:111], s[38:39], v[44:45]
	v_fma_f64 v[26:27], v[38:39], s[40:41], v[112:113]
	v_add_f64 v[42:43], v[138:139], v[42:43]
	v_fma_f64 v[30:31], v[110:111], s[38:39], -v[44:45]
	v_fma_f64 v[32:33], v[110:111], s[10:11], v[116:117]
	v_fma_f64 v[44:45], v[38:39], s[8:9], v[124:125]
	v_add_f64 v[104:105], v[114:115], v[128:129]
	v_fma_f64 v[108:109], v[110:111], s[10:11], -v[116:117]
	v_fma_f64 v[114:115], v[110:111], s[30:31], v[20:21]
	v_fma_f64 v[116:117], v[38:39], s[36:37], v[126:127]
	v_add_f64 v[54:55], v[106:107], v[122:123]
	v_fma_f64 v[122:123], v[110:111], s[20:21], v[22:23]
	v_fma_f64 v[128:129], v[38:39], s[16:17], v[132:133]
	v_add_f64 v[106:107], v[120:121], v[130:131]
	v_fma_f64 v[120:121], v[110:111], s[30:31], -v[20:21]
	v_fma_f64 v[136:137], v[110:111], s[24:25], v[24:25]
	v_fma_f64 v[138:139], v[38:39], s[28:29], v[28:29]
	v_fma_f64 v[130:131], v[110:111], s[20:21], -v[22:23]
	v_fma_f64 v[110:111], v[110:111], s[24:25], -v[24:25]
	v_fma_f64 v[140:141], v[38:39], s[22:23], v[28:29]
	v_fma_f64 v[132:133], v[38:39], s[18:19], v[132:133]
	;; [unrolled: 1-line block ×5, first 2 shown]
	v_add_f64 v[20:21], v[12:13], v[6:7]
	v_add_f64 v[22:23], v[14:15], v[4:5]
	;; [unrolled: 1-line block ×22, first 2 shown]
	ds_write_b128 v251, v[20:23]
	ds_write_b128 v251, v[24:27] offset:272
	ds_write_b128 v251, v[28:31] offset:544
	;; [unrolled: 1-line block ×10, first 2 shown]
	s_waitcnt lgkmcnt(0)
	s_barrier
	buffer_gl0_inv
	ds_read_b128 v[20:23], v249
	ds_read_b128 v[24:27], v249 offset:2992
	ds_read_b128 v[28:31], v249 offset:5984
	;; [unrolled: 1-line block ×5, first 2 shown]
	s_and_saveexec_b32 s1, s0
	s_cbranch_execz .LBB0_19
; %bb.18:
	ds_read_b128 v[0:3], v249 offset:1632
	ds_read_b128 v[4:7], v249 offset:4624
	ds_read_b128 v[8:11], v249 offset:7616
	ds_read_b128 v[16:19], v249 offset:10608
	ds_read_b128 v[12:15], v249 offset:13600
	ds_read_b128 v[100:103], v249 offset:16592
.LBB0_19:
	s_or_b32 exec_lo, exec_lo, s1
	s_waitcnt lgkmcnt(2)
	v_mul_f64 v[44:45], v[82:83], v[36:37]
	s_waitcnt lgkmcnt(0)
	v_mul_f64 v[46:47], v[86:87], v[40:41]
	v_mul_f64 v[48:49], v[90:91], v[24:25]
	;; [unrolled: 1-line block ×7, first 2 shown]
	s_mov_b32 s2, 0xe8584caa
	s_mov_b32 s3, 0xbfebb67a
	;; [unrolled: 1-line block ×4, first 2 shown]
	v_fma_f64 v[38:39], v[80:81], v[38:39], -v[44:45]
	v_fma_f64 v[42:43], v[84:85], v[42:43], -v[46:47]
	v_mul_f64 v[44:45], v[90:91], v[26:27]
	v_mul_f64 v[46:47], v[98:99], v[30:31]
	v_fma_f64 v[36:37], v[80:81], v[36:37], v[50:51]
	v_fma_f64 v[40:41], v[84:85], v[40:41], v[52:53]
	v_fma_f64 v[26:27], v[88:89], v[26:27], -v[48:49]
	v_fma_f64 v[30:31], v[96:97], v[30:31], -v[54:55]
	v_fma_f64 v[32:33], v[92:93], v[32:33], v[56:57]
	v_fma_f64 v[34:35], v[92:93], v[34:35], -v[58:59]
	v_add_f64 v[48:49], v[38:39], v[42:43]
	v_fma_f64 v[24:25], v[88:89], v[24:25], v[44:45]
	v_fma_f64 v[28:29], v[96:97], v[28:29], v[46:47]
	v_add_f64 v[54:55], v[38:39], -v[42:43]
	v_add_f64 v[44:45], v[36:37], v[40:41]
	v_add_f64 v[46:47], v[36:37], -v[40:41]
	v_add_f64 v[52:53], v[30:31], v[34:35]
	;; [unrolled: 2-line block ×3, first 2 shown]
	v_fma_f64 v[48:49], v[48:49], -0.5, v[26:27]
	v_add_f64 v[26:27], v[26:27], v[38:39]
	v_add_f64 v[50:51], v[28:29], v[32:33]
	v_fma_f64 v[44:45], v[44:45], -0.5, v[24:25]
	v_add_f64 v[24:25], v[24:25], v[36:37]
	v_fma_f64 v[22:23], v[52:53], -0.5, v[22:23]
	v_add_f64 v[30:31], v[30:31], v[34:35]
	v_fma_f64 v[56:57], v[46:47], s[8:9], v[48:49]
	v_fma_f64 v[46:47], v[46:47], s[2:3], v[48:49]
	v_add_f64 v[48:49], v[20:21], v[28:29]
	v_add_f64 v[28:29], v[28:29], -v[32:33]
	v_fma_f64 v[20:21], v[50:51], -0.5, v[20:21]
	v_fma_f64 v[36:37], v[54:55], s[2:3], v[44:45]
	v_fma_f64 v[38:39], v[54:55], s[8:9], v[44:45]
	v_add_f64 v[24:25], v[24:25], v[40:41]
	v_add_f64 v[26:27], v[26:27], v[42:43]
	v_mul_f64 v[44:45], v[56:57], s[2:3]
	v_mul_f64 v[52:53], v[56:57], 0.5
	v_mul_f64 v[50:51], v[46:47], s[2:3]
	v_mul_f64 v[46:47], v[46:47], -0.5
	v_add_f64 v[32:33], v[48:49], v[32:33]
	v_fma_f64 v[40:41], v[58:59], s[2:3], v[20:21]
	v_fma_f64 v[48:49], v[28:29], s[8:9], v[22:23]
	;; [unrolled: 1-line block ×4, first 2 shown]
	v_add_f64 v[22:23], v[30:31], v[26:27]
	v_add_f64 v[26:27], v[30:31], -v[26:27]
	v_fma_f64 v[44:45], v[36:37], 0.5, v[44:45]
	v_fma_f64 v[52:53], v[36:37], s[8:9], v[52:53]
	v_fma_f64 v[50:51], v[38:39], -0.5, v[50:51]
	v_fma_f64 v[46:47], v[38:39], s[8:9], v[46:47]
	v_add_f64 v[20:21], v[32:33], v[24:25]
	v_add_f64 v[24:25], v[32:33], -v[24:25]
	v_add_f64 v[28:29], v[40:41], v[44:45]
	v_add_f64 v[30:31], v[48:49], v[52:53]
	;; [unrolled: 1-line block ×4, first 2 shown]
	v_add_f64 v[36:37], v[40:41], -v[44:45]
	v_add_f64 v[38:39], v[48:49], -v[52:53]
	;; [unrolled: 1-line block ×4, first 2 shown]
	ds_write_b128 v250, v[20:23]
	ds_write_b128 v250, v[24:27] offset:8976
	ds_write_b128 v250, v[28:31] offset:2992
	ds_write_b128 v250, v[32:35] offset:5984
	ds_write_b128 v250, v[36:39] offset:11968
	ds_write_b128 v250, v[40:43] offset:14960
	s_and_saveexec_b32 s1, s0
	s_cbranch_execz .LBB0_21
; %bb.20:
	v_mul_f64 v[20:21], v[62:63], v[16:17]
	v_mul_f64 v[22:23], v[78:79], v[100:101]
	;; [unrolled: 1-line block ×8, first 2 shown]
	v_fma_f64 v[18:19], v[60:61], v[18:19], -v[20:21]
	v_fma_f64 v[20:21], v[76:77], v[102:103], -v[22:23]
	v_mul_f64 v[22:23], v[70:71], v[8:9]
	v_fma_f64 v[16:17], v[60:61], v[16:17], v[24:25]
	v_fma_f64 v[24:25], v[76:77], v[100:101], v[26:27]
	v_fma_f64 v[6:7], v[72:73], v[6:7], -v[28:29]
	v_mul_f64 v[28:29], v[70:71], v[10:11]
	v_fma_f64 v[14:15], v[64:65], v[14:15], -v[30:31]
	v_fma_f64 v[4:5], v[72:73], v[4:5], v[32:33]
	v_fma_f64 v[12:13], v[64:65], v[12:13], v[34:35]
	v_add_f64 v[26:27], v[18:19], v[20:21]
	v_fma_f64 v[10:11], v[68:69], v[10:11], -v[22:23]
	v_add_f64 v[32:33], v[18:19], -v[20:21]
	v_add_f64 v[22:23], v[16:17], v[24:25]
	v_add_f64 v[30:31], v[16:17], -v[24:25]
	v_fma_f64 v[8:9], v[68:69], v[8:9], v[28:29]
	v_fma_f64 v[26:27], v[26:27], -0.5, v[6:7]
	v_add_f64 v[28:29], v[10:11], v[14:15]
	v_add_f64 v[38:39], v[2:3], v[10:11]
	v_fma_f64 v[22:23], v[22:23], -0.5, v[4:5]
	v_add_f64 v[6:7], v[6:7], v[18:19]
	v_add_f64 v[36:37], v[8:9], -v[12:13]
	v_add_f64 v[4:5], v[4:5], v[16:17]
	v_add_f64 v[10:11], v[10:11], -v[14:15]
	v_fma_f64 v[34:35], v[30:31], s[2:3], v[26:27]
	v_fma_f64 v[26:27], v[30:31], s[8:9], v[26:27]
	v_add_f64 v[30:31], v[8:9], v[12:13]
	v_add_f64 v[8:9], v[0:1], v[8:9]
	v_fma_f64 v[2:3], v[28:29], -0.5, v[2:3]
	v_fma_f64 v[16:17], v[32:33], s[8:9], v[22:23]
	v_fma_f64 v[18:19], v[32:33], s[2:3], v[22:23]
	v_add_f64 v[14:15], v[38:39], v[14:15]
	v_add_f64 v[6:7], v[6:7], v[20:21]
	;; [unrolled: 1-line block ×3, first 2 shown]
	v_mul_f64 v[22:23], v[34:35], -0.5
	v_mul_f64 v[28:29], v[26:27], 0.5
	v_fma_f64 v[0:1], v[30:31], -0.5, v[0:1]
	v_mul_f64 v[26:27], v[26:27], s[2:3]
	v_mul_f64 v[30:31], v[34:35], s[2:3]
	v_add_f64 v[8:9], v[8:9], v[12:13]
	v_fma_f64 v[12:13], v[36:37], s[2:3], v[2:3]
	v_fma_f64 v[20:21], v[36:37], s[8:9], v[2:3]
	v_add_f64 v[2:3], v[14:15], -v[6:7]
	v_add_f64 v[6:7], v[14:15], v[6:7]
	v_fma_f64 v[22:23], v[16:17], s[8:9], v[22:23]
	v_fma_f64 v[24:25], v[18:19], s[8:9], v[28:29]
	;; [unrolled: 1-line block ×3, first 2 shown]
	v_fma_f64 v[26:27], v[18:19], 0.5, v[26:27]
	v_fma_f64 v[28:29], v[10:11], s[8:9], v[0:1]
	v_fma_f64 v[30:31], v[16:17], -0.5, v[30:31]
	v_add_f64 v[0:1], v[8:9], -v[4:5]
	v_add_f64 v[4:5], v[8:9], v[4:5]
	v_add_f64 v[10:11], v[12:13], -v[22:23]
	v_add_f64 v[14:15], v[20:21], -v[24:25]
	v_add_f64 v[18:19], v[12:13], v[22:23]
	v_add_f64 v[22:23], v[20:21], v[24:25]
	;; [unrolled: 1-line block ×4, first 2 shown]
	v_add_f64 v[12:13], v[32:33], -v[26:27]
	v_add_f64 v[8:9], v[28:29], -v[30:31]
	ds_write_b128 v250, v[4:7] offset:1632
	ds_write_b128 v250, v[0:3] offset:10608
	;; [unrolled: 1-line block ×6, first 2 shown]
.LBB0_21:
	s_or_b32 exec_lo, exec_lo, s1
	s_waitcnt lgkmcnt(0)
	s_barrier
	buffer_gl0_inv
	s_and_b32 exec_lo, exec_lo, vcc_lo
	s_cbranch_execz .LBB0_23
; %bb.22:
	global_load_dwordx4 v[0:3], v255, s[12:13]
	ds_read_b128 v[4:7], v250
	ds_read_b128 v[8:11], v250 offset:1056
	s_clause 0x1
	buffer_load_dword v14, off, s[60:63], 0 offset:16
	buffer_load_dword v15, off, s[60:63], 0 offset:20
	s_mov_b32 s0, 0x4bc01d34
	s_mov_b32 s1, 0x3f4d347a
	s_mul_i32 s3, s4, 0x420
	s_waitcnt vmcnt(2) lgkmcnt(1)
	v_mul_f64 v[12:13], v[6:7], v[2:3]
	v_mul_f64 v[2:3], v[4:5], v[2:3]
	s_waitcnt vmcnt(1)
	v_mov_b32_e32 v16, v14
	s_waitcnt vmcnt(0)
	v_mad_u64_u32 v[14:15], null, s6, v16, 0
	v_fma_f64 v[4:5], v[4:5], v[0:1], v[12:13]
	v_fma_f64 v[2:3], v[0:1], v[6:7], -v[2:3]
	v_mad_u64_u32 v[6:7], null, s4, v152, 0
	v_mov_b32_e32 v0, v15
	v_mov_b32_e32 v1, v7
	v_mad_u64_u32 v[12:13], null, s7, v16, v[0:1]
	v_mov_b32_e32 v15, v12
	v_mad_u64_u32 v[16:17], null, s5, v152, v[1:2]
	v_mul_f64 v[0:1], v[4:5], s[0:1]
	v_mul_f64 v[2:3], v[2:3], s[0:1]
	v_lshlrev_b64 v[4:5], 4, v[14:15]
	v_mov_b32_e32 v7, v16
	v_add_co_u32 v4, vcc_lo, s14, v4
	v_add_co_ci_u32_e32 v5, vcc_lo, s15, v5, vcc_lo
	v_lshlrev_b64 v[6:7], 4, v[6:7]
	v_add_co_u32 v6, vcc_lo, v4, v6
	v_add_co_ci_u32_e32 v7, vcc_lo, v5, v7, vcc_lo
	v_add_co_u32 v14, vcc_lo, v6, s3
	global_store_dwordx4 v[6:7], v[0:3], off
	global_load_dwordx4 v[0:3], v255, s[12:13] offset:1056
	s_waitcnt vmcnt(0) lgkmcnt(0)
	v_mul_f64 v[4:5], v[10:11], v[2:3]
	v_mul_f64 v[2:3], v[8:9], v[2:3]
	v_fma_f64 v[4:5], v[8:9], v[0:1], v[4:5]
	v_fma_f64 v[0:1], v[0:1], v[10:11], -v[2:3]
	v_mul_f64 v[2:3], v[4:5], s[0:1]
	v_mul_f64 v[4:5], v[0:1], s[0:1]
	v_add_co_u32 v0, s2, s12, v255
	v_add_co_ci_u32_e64 v1, null, s13, 0, s2
	s_mul_i32 s2, s5, 0x420
	s_mul_hi_u32 s5, s4, 0x420
	s_add_i32 s2, s5, s2
	v_add_co_ci_u32_e32 v15, vcc_lo, s2, v7, vcc_lo
	v_add_co_u32 v16, vcc_lo, 0x800, v0
	v_add_co_ci_u32_e32 v17, vcc_lo, 0, v1, vcc_lo
	global_store_dwordx4 v[14:15], v[2:5], off
	global_load_dwordx4 v[2:5], v[16:17], off offset:64
	ds_read_b128 v[6:9], v250 offset:2112
	ds_read_b128 v[10:13], v250 offset:3168
	s_waitcnt vmcnt(0) lgkmcnt(1)
	v_mul_f64 v[18:19], v[8:9], v[4:5]
	v_mul_f64 v[4:5], v[6:7], v[4:5]
	v_fma_f64 v[6:7], v[6:7], v[2:3], v[18:19]
	v_fma_f64 v[4:5], v[2:3], v[8:9], -v[4:5]
	v_mul_f64 v[2:3], v[6:7], s[0:1]
	v_mul_f64 v[4:5], v[4:5], s[0:1]
	v_add_co_u32 v6, vcc_lo, v14, s3
	v_add_co_ci_u32_e32 v7, vcc_lo, s2, v15, vcc_lo
	v_add_co_u32 v14, vcc_lo, v6, s3
	v_add_co_ci_u32_e32 v15, vcc_lo, s2, v7, vcc_lo
	global_store_dwordx4 v[6:7], v[2:5], off
	global_load_dwordx4 v[2:5], v[16:17], off offset:1120
	v_add_co_u32 v16, vcc_lo, 0x1000, v0
	v_add_co_ci_u32_e32 v17, vcc_lo, 0, v1, vcc_lo
	s_waitcnt vmcnt(0) lgkmcnt(0)
	v_mul_f64 v[8:9], v[12:13], v[4:5]
	v_mul_f64 v[4:5], v[10:11], v[4:5]
	v_fma_f64 v[8:9], v[10:11], v[2:3], v[8:9]
	v_fma_f64 v[4:5], v[2:3], v[12:13], -v[4:5]
	v_mul_f64 v[2:3], v[8:9], s[0:1]
	v_mul_f64 v[4:5], v[4:5], s[0:1]
	global_store_dwordx4 v[14:15], v[2:5], off
	global_load_dwordx4 v[2:5], v[16:17], off offset:128
	ds_read_b128 v[6:9], v250 offset:4224
	ds_read_b128 v[10:13], v250 offset:5280
	s_waitcnt vmcnt(0) lgkmcnt(1)
	v_mul_f64 v[18:19], v[8:9], v[4:5]
	v_mul_f64 v[4:5], v[6:7], v[4:5]
	v_fma_f64 v[6:7], v[6:7], v[2:3], v[18:19]
	v_fma_f64 v[4:5], v[2:3], v[8:9], -v[4:5]
	v_mul_f64 v[2:3], v[6:7], s[0:1]
	v_mul_f64 v[4:5], v[4:5], s[0:1]
	v_add_co_u32 v6, vcc_lo, v14, s3
	v_add_co_ci_u32_e32 v7, vcc_lo, s2, v15, vcc_lo
	v_add_co_u32 v14, vcc_lo, v6, s3
	v_add_co_ci_u32_e32 v15, vcc_lo, s2, v7, vcc_lo
	global_store_dwordx4 v[6:7], v[2:5], off
	global_load_dwordx4 v[2:5], v[16:17], off offset:1184
	v_add_co_u32 v16, vcc_lo, 0x1800, v0
	v_add_co_ci_u32_e32 v17, vcc_lo, 0, v1, vcc_lo
	s_waitcnt vmcnt(0) lgkmcnt(0)
	v_mul_f64 v[8:9], v[12:13], v[4:5]
	v_mul_f64 v[4:5], v[10:11], v[4:5]
	v_fma_f64 v[8:9], v[10:11], v[2:3], v[8:9]
	v_fma_f64 v[4:5], v[2:3], v[12:13], -v[4:5]
	v_mul_f64 v[2:3], v[8:9], s[0:1]
	v_mul_f64 v[4:5], v[4:5], s[0:1]
	;; [unrolled: 26-line block ×6, first 2 shown]
	global_store_dwordx4 v[14:15], v[2:5], off
	global_load_dwordx4 v[2:5], v[16:17], off offset:448
	ds_read_b128 v[6:9], v250 offset:14784
	ds_read_b128 v[10:13], v250 offset:15840
	s_waitcnt vmcnt(0) lgkmcnt(1)
	v_mul_f64 v[18:19], v[8:9], v[4:5]
	v_mul_f64 v[4:5], v[6:7], v[4:5]
	v_fma_f64 v[6:7], v[6:7], v[2:3], v[18:19]
	v_fma_f64 v[4:5], v[2:3], v[8:9], -v[4:5]
	v_mul_f64 v[2:3], v[6:7], s[0:1]
	v_mul_f64 v[4:5], v[4:5], s[0:1]
	v_add_co_u32 v6, vcc_lo, v14, s3
	v_add_co_ci_u32_e32 v7, vcc_lo, s2, v15, vcc_lo
	global_store_dwordx4 v[6:7], v[2:5], off
	global_load_dwordx4 v[2:5], v[16:17], off offset:1504
	s_waitcnt vmcnt(0) lgkmcnt(0)
	v_mul_f64 v[8:9], v[12:13], v[4:5]
	v_mul_f64 v[4:5], v[10:11], v[4:5]
	v_fma_f64 v[8:9], v[10:11], v[2:3], v[8:9]
	v_fma_f64 v[4:5], v[2:3], v[12:13], -v[4:5]
	v_mul_f64 v[2:3], v[8:9], s[0:1]
	v_mul_f64 v[4:5], v[4:5], s[0:1]
	v_add_co_u32 v8, vcc_lo, v6, s3
	v_add_co_ci_u32_e32 v9, vcc_lo, s2, v7, vcc_lo
	v_add_co_u32 v0, vcc_lo, 0x4000, v0
	v_add_co_ci_u32_e32 v1, vcc_lo, 0, v1, vcc_lo
	global_store_dwordx4 v[8:9], v[2:5], off
	global_load_dwordx4 v[0:3], v[0:1], off offset:512
	ds_read_b128 v[4:7], v250 offset:16896
	s_waitcnt vmcnt(0) lgkmcnt(0)
	v_mul_f64 v[10:11], v[6:7], v[2:3]
	v_mul_f64 v[2:3], v[4:5], v[2:3]
	v_fma_f64 v[4:5], v[4:5], v[0:1], v[10:11]
	v_fma_f64 v[2:3], v[0:1], v[6:7], -v[2:3]
	v_mul_f64 v[0:1], v[4:5], s[0:1]
	v_mul_f64 v[2:3], v[2:3], s[0:1]
	v_add_co_u32 v4, vcc_lo, v8, s3
	v_add_co_ci_u32_e32 v5, vcc_lo, s2, v9, vcc_lo
	global_store_dwordx4 v[4:5], v[0:3], off
.LBB0_23:
	s_endpgm
	.section	.rodata,"a",@progbits
	.p2align	6, 0x0
	.amdhsa_kernel bluestein_single_back_len1122_dim1_dp_op_CI_CI
		.amdhsa_group_segment_fixed_size 35904
		.amdhsa_private_segment_fixed_size 464
		.amdhsa_kernarg_size 104
		.amdhsa_user_sgpr_count 6
		.amdhsa_user_sgpr_private_segment_buffer 1
		.amdhsa_user_sgpr_dispatch_ptr 0
		.amdhsa_user_sgpr_queue_ptr 0
		.amdhsa_user_sgpr_kernarg_segment_ptr 1
		.amdhsa_user_sgpr_dispatch_id 0
		.amdhsa_user_sgpr_flat_scratch_init 0
		.amdhsa_user_sgpr_private_segment_size 0
		.amdhsa_wavefront_size32 1
		.amdhsa_uses_dynamic_stack 0
		.amdhsa_system_sgpr_private_segment_wavefront_offset 1
		.amdhsa_system_sgpr_workgroup_id_x 1
		.amdhsa_system_sgpr_workgroup_id_y 0
		.amdhsa_system_sgpr_workgroup_id_z 0
		.amdhsa_system_sgpr_workgroup_info 0
		.amdhsa_system_vgpr_workitem_id 0
		.amdhsa_next_free_vgpr 256
		.amdhsa_next_free_sgpr 64
		.amdhsa_reserve_vcc 1
		.amdhsa_reserve_flat_scratch 0
		.amdhsa_float_round_mode_32 0
		.amdhsa_float_round_mode_16_64 0
		.amdhsa_float_denorm_mode_32 3
		.amdhsa_float_denorm_mode_16_64 3
		.amdhsa_dx10_clamp 1
		.amdhsa_ieee_mode 1
		.amdhsa_fp16_overflow 0
		.amdhsa_workgroup_processor_mode 1
		.amdhsa_memory_ordered 1
		.amdhsa_forward_progress 0
		.amdhsa_shared_vgpr_count 0
		.amdhsa_exception_fp_ieee_invalid_op 0
		.amdhsa_exception_fp_denorm_src 0
		.amdhsa_exception_fp_ieee_div_zero 0
		.amdhsa_exception_fp_ieee_overflow 0
		.amdhsa_exception_fp_ieee_underflow 0
		.amdhsa_exception_fp_ieee_inexact 0
		.amdhsa_exception_int_div_zero 0
	.end_amdhsa_kernel
	.text
.Lfunc_end0:
	.size	bluestein_single_back_len1122_dim1_dp_op_CI_CI, .Lfunc_end0-bluestein_single_back_len1122_dim1_dp_op_CI_CI
                                        ; -- End function
	.section	.AMDGPU.csdata,"",@progbits
; Kernel info:
; codeLenInByte = 30896
; NumSgprs: 66
; NumVgprs: 256
; ScratchSize: 464
; MemoryBound: 0
; FloatMode: 240
; IeeeMode: 1
; LDSByteSize: 35904 bytes/workgroup (compile time only)
; SGPRBlocks: 8
; VGPRBlocks: 31
; NumSGPRsForWavesPerEU: 66
; NumVGPRsForWavesPerEU: 256
; Occupancy: 4
; WaveLimiterHint : 1
; COMPUTE_PGM_RSRC2:SCRATCH_EN: 1
; COMPUTE_PGM_RSRC2:USER_SGPR: 6
; COMPUTE_PGM_RSRC2:TRAP_HANDLER: 0
; COMPUTE_PGM_RSRC2:TGID_X_EN: 1
; COMPUTE_PGM_RSRC2:TGID_Y_EN: 0
; COMPUTE_PGM_RSRC2:TGID_Z_EN: 0
; COMPUTE_PGM_RSRC2:TIDIG_COMP_CNT: 0
	.text
	.p2alignl 6, 3214868480
	.fill 48, 4, 3214868480
	.type	__hip_cuid_6d6fdc742a74eea3,@object ; @__hip_cuid_6d6fdc742a74eea3
	.section	.bss,"aw",@nobits
	.globl	__hip_cuid_6d6fdc742a74eea3
__hip_cuid_6d6fdc742a74eea3:
	.byte	0                               ; 0x0
	.size	__hip_cuid_6d6fdc742a74eea3, 1

	.ident	"AMD clang version 19.0.0git (https://github.com/RadeonOpenCompute/llvm-project roc-6.4.0 25133 c7fe45cf4b819c5991fe208aaa96edf142730f1d)"
	.section	".note.GNU-stack","",@progbits
	.addrsig
	.addrsig_sym __hip_cuid_6d6fdc742a74eea3
	.amdgpu_metadata
---
amdhsa.kernels:
  - .args:
      - .actual_access:  read_only
        .address_space:  global
        .offset:         0
        .size:           8
        .value_kind:     global_buffer
      - .actual_access:  read_only
        .address_space:  global
        .offset:         8
        .size:           8
        .value_kind:     global_buffer
      - .actual_access:  read_only
        .address_space:  global
        .offset:         16
        .size:           8
        .value_kind:     global_buffer
      - .actual_access:  read_only
        .address_space:  global
        .offset:         24
        .size:           8
        .value_kind:     global_buffer
      - .actual_access:  read_only
        .address_space:  global
        .offset:         32
        .size:           8
        .value_kind:     global_buffer
      - .offset:         40
        .size:           8
        .value_kind:     by_value
      - .address_space:  global
        .offset:         48
        .size:           8
        .value_kind:     global_buffer
      - .address_space:  global
        .offset:         56
        .size:           8
        .value_kind:     global_buffer
      - .address_space:  global
        .offset:         64
        .size:           8
        .value_kind:     global_buffer
      - .address_space:  global
        .offset:         72
        .size:           8
        .value_kind:     global_buffer
      - .offset:         80
        .size:           4
        .value_kind:     by_value
      - .address_space:  global
        .offset:         88
        .size:           8
        .value_kind:     global_buffer
      - .address_space:  global
        .offset:         96
        .size:           8
        .value_kind:     global_buffer
    .group_segment_fixed_size: 35904
    .kernarg_segment_align: 8
    .kernarg_segment_size: 104
    .language:       OpenCL C
    .language_version:
      - 2
      - 0
    .max_flat_workgroup_size: 204
    .name:           bluestein_single_back_len1122_dim1_dp_op_CI_CI
    .private_segment_fixed_size: 464
    .sgpr_count:     66
    .sgpr_spill_count: 0
    .symbol:         bluestein_single_back_len1122_dim1_dp_op_CI_CI.kd
    .uniform_work_group_size: 1
    .uses_dynamic_stack: false
    .vgpr_count:     256
    .vgpr_spill_count: 136
    .wavefront_size: 32
    .workgroup_processor_mode: 1
amdhsa.target:   amdgcn-amd-amdhsa--gfx1030
amdhsa.version:
  - 1
  - 2
...

	.end_amdgpu_metadata
